;; amdgpu-corpus repo=ROCm/rocFFT kind=compiled arch=gfx906 opt=O3
	.text
	.amdgcn_target "amdgcn-amd-amdhsa--gfx906"
	.amdhsa_code_object_version 6
	.protected	bluestein_single_fwd_len1683_dim1_sp_op_CI_CI ; -- Begin function bluestein_single_fwd_len1683_dim1_sp_op_CI_CI
	.globl	bluestein_single_fwd_len1683_dim1_sp_op_CI_CI
	.p2align	8
	.type	bluestein_single_fwd_len1683_dim1_sp_op_CI_CI,@function
bluestein_single_fwd_len1683_dim1_sp_op_CI_CI: ; @bluestein_single_fwd_len1683_dim1_sp_op_CI_CI
; %bb.0:
	s_mov_b64 s[26:27], s[2:3]
	s_mov_b64 s[24:25], s[0:1]
	s_load_dwordx4 s[0:3], s[4:5], 0x28
	v_mul_u32_u24_e32 v1, 0x506, v0
	v_add_u32_sdwa v4, s6, v1 dst_sel:DWORD dst_unused:UNUSED_PAD src0_sel:DWORD src1_sel:WORD_1
	v_mov_b32_e32 v5, 0
	s_add_u32 s24, s24, s7
	s_waitcnt lgkmcnt(0)
	v_cmp_gt_u64_e32 vcc, s[0:1], v[4:5]
	s_addc_u32 s25, s25, 0
	s_and_saveexec_b64 s[0:1], vcc
	s_cbranch_execz .LBB0_15
; %bb.1:
	s_load_dwordx4 s[16:19], s[4:5], 0x18
	s_load_dwordx2 s[6:7], s[4:5], 0x0
	v_mov_b32_e32 v2, 51
	v_mul_lo_u16_sdwa v1, v1, v2 dst_sel:DWORD dst_unused:UNUSED_PAD src0_sel:WORD_1 src1_sel:DWORD
	v_sub_u16_e32 v215, v0, v1
	s_waitcnt lgkmcnt(0)
	s_load_dwordx4 s[12:15], s[16:17], 0x0
	v_mov_b32_e32 v5, v4
	buffer_store_dword v5, off, s[24:27], 0 offset:24 ; 4-byte Folded Spill
	s_nop 0
	buffer_store_dword v6, off, s[24:27], 0 offset:28 ; 4-byte Folded Spill
	v_lshlrev_b32_e32 v237, 3, v215
	s_waitcnt lgkmcnt(0)
	v_mad_u64_u32 v[0:1], s[0:1], s14, v4, 0
	v_mad_u64_u32 v[2:3], s[0:1], s12, v215, 0
	;; [unrolled: 1-line block ×3, first 2 shown]
	s_load_dwordx2 s[14:15], s[4:5], 0x38
	s_load_dwordx4 s[8:11], s[18:19], 0x0
	v_mad_u64_u32 v[5:6], s[0:1], s13, v215, v[3:4]
	v_mov_b32_e32 v1, v4
	v_lshlrev_b64 v[0:1], 3, v[0:1]
	v_mov_b32_e32 v3, v5
	v_mov_b32_e32 v4, s3
	v_add_co_u32_e32 v6, vcc, s2, v0
	v_addc_co_u32_e32 v7, vcc, v4, v1, vcc
	v_lshlrev_b64 v[0:1], 3, v[2:3]
	s_mul_i32 s0, s13, 0x63
	v_add_co_u32_e32 v0, vcc, v6, v0
	v_addc_co_u32_e32 v1, vcc, v7, v1, vcc
	s_mul_hi_u32 s1, s12, 0x63
	v_mov_b32_e32 v2, s7
	v_add_co_u32_e32 v196, vcc, s6, v237
	s_add_i32 s1, s1, s0
	s_mul_i32 s0, s12, 0x63
	v_addc_co_u32_e32 v197, vcc, 0, v2, vcc
	s_lshl_b64 s[2:3], s[0:1], 3
	v_mov_b32_e32 v42, s3
	v_add_co_u32_e32 v2, vcc, s2, v0
	v_addc_co_u32_e32 v3, vcc, v1, v42, vcc
	v_add_co_u32_e32 v4, vcc, s2, v2
	v_addc_co_u32_e32 v5, vcc, v3, v42, vcc
	;; [unrolled: 2-line block ×3, first 2 shown]
	global_load_dwordx2 v[10:11], v[0:1], off
	global_load_dwordx2 v[12:13], v[2:3], off
	;; [unrolled: 1-line block ×4, first 2 shown]
	global_load_dwordx2 v[58:59], v237, s[6:7]
	global_load_dwordx2 v[56:57], v237, s[6:7] offset:792
	global_load_dwordx2 v[54:55], v237, s[6:7] offset:1584
	;; [unrolled: 1-line block ×3, first 2 shown]
	v_add_co_u32_e32 v0, vcc, s2, v8
	v_addc_co_u32_e32 v1, vcc, v9, v42, vcc
	global_load_dwordx2 v[18:19], v[0:1], off
	v_add_co_u32_e32 v0, vcc, s2, v0
	v_addc_co_u32_e32 v1, vcc, v1, v42, vcc
	v_add_co_u32_e32 v2, vcc, s2, v0
	v_addc_co_u32_e32 v3, vcc, v1, v42, vcc
	s_movk_i32 s0, 0x1000
	global_load_dwordx2 v[20:21], v[0:1], off
	global_load_dwordx2 v[50:51], v237, s[6:7] offset:3168
	global_load_dwordx2 v[44:45], v237, s[6:7] offset:3960
	v_add_co_u32_e32 v0, vcc, s0, v196
	v_addc_co_u32_e32 v1, vcc, 0, v197, vcc
	global_load_dwordx2 v[22:23], v[2:3], off
	v_add_co_u32_e32 v2, vcc, s2, v2
	v_addc_co_u32_e32 v3, vcc, v3, v42, vcc
	global_load_dwordx2 v[24:25], v[2:3], off
	;; [unrolled: 3-line block ×4, first 2 shown]
	global_load_dwordx2 v[52:53], v[0:1], off offset:656
	global_load_dwordx2 v[46:47], v[0:1], off offset:1448
	;; [unrolled: 1-line block ×4, first 2 shown]
	v_add_co_u32_e32 v2, vcc, s2, v2
	v_addc_co_u32_e32 v3, vcc, v3, v42, vcc
	v_add_co_u32_e32 v4, vcc, s2, v2
	v_addc_co_u32_e32 v5, vcc, v3, v42, vcc
	s_movk_i32 s0, 0x2000
	global_load_dwordx2 v[30:31], v[2:3], off
	global_load_dwordx2 v[223:224], v[0:1], off offset:3824
	v_add_co_u32_e32 v2, vcc, s0, v196
	v_addc_co_u32_e32 v3, vcc, 0, v197, vcc
	global_load_dwordx2 v[32:33], v[4:5], off
	v_add_co_u32_e32 v4, vcc, s2, v4
	v_addc_co_u32_e32 v5, vcc, v5, v42, vcc
	global_load_dwordx2 v[34:35], v[4:5], off
	v_add_co_u32_e32 v4, vcc, s2, v4
	v_addc_co_u32_e32 v5, vcc, v5, v42, vcc
	global_load_dwordx2 v[36:37], v[4:5], off
	v_add_co_u32_e32 v4, vcc, s2, v4
	v_addc_co_u32_e32 v5, vcc, v5, v42, vcc
	global_load_dwordx2 v[220:221], v[2:3], off offset:520
	global_load_dwordx2 v[38:39], v[4:5], off
	global_load_dwordx2 v[226:227], v[2:3], off offset:1312
	global_load_dwordx2 v[60:61], v[2:3], off offset:2104
	;; [unrolled: 1-line block ×3, first 2 shown]
	v_add_co_u32_e32 v4, vcc, s2, v4
	v_addc_co_u32_e32 v5, vcc, v5, v42, vcc
	global_load_dwordx2 v[40:41], v[4:5], off
	global_load_dwordx2 v[213:214], v[2:3], off offset:3688
	v_add_co_u32_e32 v4, vcc, s2, v4
	v_addc_co_u32_e32 v5, vcc, v5, v42, vcc
	s_movk_i32 s0, 0x3000
	v_add_co_u32_e32 v8, vcc, s0, v196
	v_addc_co_u32_e32 v9, vcc, 0, v197, vcc
	global_load_dwordx2 v[211:212], v[8:9], off offset:384
	s_waitcnt vmcnt(28)
	v_mul_f32_e32 v8, v11, v59
	global_load_dwordx2 v[42:43], v[4:5], off
	v_fmac_f32_e32 v8, v10, v58
	v_mul_f32_e32 v9, v10, v59
	buffer_store_dword v58, off, s[24:27], 0 offset:64 ; 4-byte Folded Spill
	s_nop 0
	buffer_store_dword v59, off, s[24:27], 0 offset:68 ; 4-byte Folded Spill
	s_waitcnt vmcnt(30)
	v_mul_f32_e32 v10, v13, v57
	v_fmac_f32_e32 v10, v12, v56
	v_cmp_gt_u16_e64 s[0:1], 48, v215
	v_fma_f32 v9, v11, v58, -v9
	v_mul_f32_e32 v11, v12, v57
	buffer_store_dword v56, off, s[24:27], 0 offset:56 ; 4-byte Folded Spill
	s_nop 0
	buffer_store_dword v57, off, s[24:27], 0 offset:60 ; 4-byte Folded Spill
	v_fma_f32 v11, v13, v56, -v11
	ds_write2_b64 v237, v[8:9], v[10:11] offset1:99
	s_waitcnt vmcnt(31)
	v_mul_f32_e32 v9, v15, v55
	v_fmac_f32_e32 v9, v14, v54
	v_mul_f32_e32 v8, v14, v55
	buffer_store_dword v54, off, s[24:27], 0 offset:48 ; 4-byte Folded Spill
	s_nop 0
	buffer_store_dword v55, off, s[24:27], 0 offset:52 ; 4-byte Folded Spill
	s_waitcnt vmcnt(32)
	v_mul_f32_e32 v11, v17, v49
	v_fmac_f32_e32 v11, v16, v48
	v_fma_f32 v10, v15, v54, -v8
	v_mul_f32_e32 v8, v16, v49
	buffer_store_dword v48, off, s[24:27], 0 offset:16 ; 4-byte Folded Spill
	s_nop 0
	buffer_store_dword v49, off, s[24:27], 0 offset:20 ; 4-byte Folded Spill
	v_fma_f32 v12, v17, v48, -v8
	v_add_u32_e32 v8, 0x400, v237
	ds_write2_b64 v8, v[9:10], v[11:12] offset0:70 offset1:169
	s_waitcnt vmcnt(31)
	v_mul_f32_e32 v10, v19, v51
	v_fmac_f32_e32 v10, v18, v50
	v_mul_f32_e32 v9, v18, v51
	buffer_store_dword v50, off, s[24:27], 0 offset:32 ; 4-byte Folded Spill
	s_nop 0
	buffer_store_dword v51, off, s[24:27], 0 offset:36 ; 4-byte Folded Spill
	s_waitcnt vmcnt(32)
	v_mul_f32_e32 v12, v21, v45
	v_fmac_f32_e32 v12, v20, v44
	v_fma_f32 v11, v19, v50, -v9
	v_mul_f32_e32 v9, v20, v45
	buffer_store_dword v44, off, s[24:27], 0 ; 4-byte Folded Spill
	s_nop 0
	buffer_store_dword v45, off, s[24:27], 0 offset:4 ; 4-byte Folded Spill
	v_fma_f32 v13, v21, v44, -v9
	v_add_u32_e32 v9, 0x800, v237
	ds_write2_b64 v9, v[10:11], v[12:13] offset0:140 offset1:239
	s_waitcnt vmcnt(29)
	v_mul_f32_e32 v11, v23, v53
	v_fmac_f32_e32 v11, v22, v52
	v_mul_f32_e32 v10, v22, v53
	buffer_store_dword v52, off, s[24:27], 0 offset:40 ; 4-byte Folded Spill
	s_nop 0
	buffer_store_dword v53, off, s[24:27], 0 offset:44 ; 4-byte Folded Spill
	s_waitcnt vmcnt(30)
	v_mul_f32_e32 v13, v25, v47
	v_fmac_f32_e32 v13, v24, v46
	v_fma_f32 v12, v23, v52, -v10
	v_mul_f32_e32 v10, v24, v47
	buffer_store_dword v46, off, s[24:27], 0 offset:8 ; 4-byte Folded Spill
	s_nop 0
	buffer_store_dword v47, off, s[24:27], 0 offset:12 ; 4-byte Folded Spill
	v_fma_f32 v14, v25, v46, -v10
	v_add_u32_e32 v10, 0x1000, v237
	ds_write2_b64 v10, v[11:12], v[13:14] offset0:82 offset1:181
	s_waitcnt vmcnt(31)
	v_mul_f32_e32 v11, v26, v231
	v_mul_f32_e32 v12, v27, v231
	v_fma_f32 v13, v27, v230, -v11
	s_waitcnt vmcnt(30)
	v_mul_f32_e32 v14, v29, v229
	v_mul_f32_e32 v11, v28, v229
	v_fmac_f32_e32 v12, v26, v230
	v_fmac_f32_e32 v14, v28, v228
	v_fma_f32 v15, v29, v228, -v11
	v_add_u32_e32 v11, 0x1800, v237
	ds_write2_b64 v11, v[12:13], v[14:15] offset0:24 offset1:123
	s_waitcnt vmcnt(28)
	v_mul_f32_e32 v12, v30, v224
	v_mul_f32_e32 v13, v31, v224
	v_fma_f32 v14, v31, v223, -v12
	s_waitcnt vmcnt(24)
	v_mul_f32_e32 v15, v33, v221
	v_mul_f32_e32 v12, v32, v221
	v_fmac_f32_e32 v13, v30, v223
	v_fmac_f32_e32 v15, v32, v220
	v_fma_f32 v16, v33, v220, -v12
	v_add_u32_e32 v12, 0x1c00, v237
	ds_write2_b64 v12, v[13:14], v[15:16] offset0:94 offset1:193
	s_waitcnt vmcnt(22)
	v_mul_f32_e32 v13, v34, v227
	s_waitcnt vmcnt(21)
	v_mul_f32_e32 v16, v37, v61
	v_fma_f32 v15, v35, v226, -v13
	v_fmac_f32_e32 v16, v36, v60
	v_mul_f32_e32 v13, v36, v61
	buffer_store_dword v60, off, s[24:27], 0 offset:152 ; 4-byte Folded Spill
	s_nop 0
	buffer_store_dword v61, off, s[24:27], 0 offset:156 ; 4-byte Folded Spill
	v_mul_f32_e32 v14, v35, v227
	v_fmac_f32_e32 v14, v34, v226
	v_fma_f32 v17, v37, v60, -v13
	v_add_u32_e32 v13, 0x2400, v237
	ds_write2_b64 v13, v[14:15], v[16:17] offset0:36 offset1:135
	s_waitcnt vmcnt(22)
	v_mul_f32_e32 v14, v38, v217
	v_mul_f32_e32 v15, v39, v217
	v_fma_f32 v16, v39, v216, -v14
	s_waitcnt vmcnt(20)
	v_mul_f32_e32 v17, v41, v214
	v_mul_f32_e32 v14, v40, v214
	v_fmac_f32_e32 v15, v38, v216
	v_fmac_f32_e32 v17, v40, v213
	v_fma_f32 v18, v41, v213, -v14
	v_add_u32_e32 v14, 0x2800, v237
	ds_write2_b64 v14, v[15:16], v[17:18] offset0:106 offset1:205
	s_waitcnt vmcnt(18)
	v_mul_f32_e32 v15, v43, v212
	v_mul_f32_e32 v16, v42, v212
	v_fmac_f32_e32 v15, v42, v211
	v_fma_f32 v16, v43, v211, -v16
	ds_write_b64 v237, v[15:16] offset:12672
	s_and_saveexec_b64 s[16:17], s[0:1]
	s_cbranch_execz .LBB0_3
; %bb.2:
	v_mov_b32_e32 v15, 0xffffd018
	v_mad_u64_u32 v[4:5], s[18:19], s12, v15, v[4:5]
	s_mul_i32 s18, s13, 0xffffd018
	s_sub_i32 s18, s18, s12
	v_add_u32_e32 v5, s18, v5
	global_load_dwordx2 v[15:16], v[4:5], off
	v_mov_b32_e32 v67, s3
	v_add_co_u32_e32 v4, vcc, s2, v4
	v_addc_co_u32_e32 v5, vcc, v5, v67, vcc
	global_load_dwordx2 v[17:18], v[4:5], off
	v_add_co_u32_e32 v4, vcc, s2, v4
	v_addc_co_u32_e32 v5, vcc, v5, v67, vcc
	global_load_dwordx2 v[19:20], v[4:5], off
	v_add_co_u32_e32 v4, vcc, s2, v4
	v_addc_co_u32_e32 v5, vcc, v5, v67, vcc
	global_load_dwordx2 v[21:22], v[4:5], off
	global_load_dwordx2 v[23:24], v[196:197], off offset:408
	global_load_dwordx2 v[25:26], v[196:197], off offset:1200
	global_load_dwordx2 v[27:28], v[196:197], off offset:1992
	global_load_dwordx2 v[29:30], v[196:197], off offset:2784
	v_add_co_u32_e32 v4, vcc, s2, v4
	v_addc_co_u32_e32 v5, vcc, v5, v67, vcc
	global_load_dwordx2 v[31:32], v[4:5], off
	v_add_co_u32_e32 v4, vcc, s2, v4
	v_addc_co_u32_e32 v5, vcc, v5, v67, vcc
	global_load_dwordx2 v[33:34], v[4:5], off
	v_add_co_u32_e32 v4, vcc, s2, v4
	v_addc_co_u32_e32 v5, vcc, v5, v67, vcc
	global_load_dwordx2 v[35:36], v[4:5], off
	v_add_co_u32_e32 v4, vcc, s2, v4
	v_addc_co_u32_e32 v5, vcc, v5, v67, vcc
	global_load_dwordx2 v[37:38], v[4:5], off
	global_load_dwordx2 v[39:40], v[196:197], off offset:3576
	global_load_dwordx2 v[41:42], v[0:1], off offset:272
	global_load_dwordx2 v[43:44], v[0:1], off offset:1064
	global_load_dwordx2 v[45:46], v[0:1], off offset:1856
	v_add_co_u32_e32 v4, vcc, s2, v4
	v_addc_co_u32_e32 v5, vcc, v5, v67, vcc
	global_load_dwordx2 v[47:48], v[4:5], off
	;; [unrolled: 16-line block ×3, first 2 shown]
	v_add_co_u32_e32 v0, vcc, s2, v0
	v_addc_co_u32_e32 v1, vcc, v1, v67, vcc
	global_load_dwordx2 v[63:64], v[0:1], off
	v_add_co_u32_e32 v0, vcc, s2, v0
	v_addc_co_u32_e32 v1, vcc, v1, v67, vcc
	global_load_dwordx2 v[67:68], v[0:1], off
	v_or_b32_e32 v76, 0x600, v215
	v_mad_u64_u32 v[65:66], s[18:19], s12, v76, 0
	s_waitcnt vmcnt(0)
	v_mad_u64_u32 v[69:70], s[2:3], s13, v76, v[66:67]
	global_load_dwordx2 v[70:71], v[2:3], off offset:1720
	global_load_dwordx2 v[72:73], v[2:3], off offset:2512
	;; [unrolled: 1-line block ×3, first 2 shown]
	v_mov_b32_e32 v66, v69
	v_lshlrev_b64 v[2:3], 3, v[65:66]
	v_add_co_u32_e32 v2, vcc, v6, v2
	v_mov_b32_e32 v6, 0x630
	v_mad_u64_u32 v[0:1], s[2:3], s12, v6, v[0:1]
	v_addc_co_u32_e32 v3, vcc, v7, v3, vcc
	v_lshlrev_b32_e32 v6, 3, v76
	global_load_dwordx2 v[2:3], v[2:3], off
	s_mul_i32 s2, s13, 0x630
	global_load_dwordx2 v[6:7], v6, s[6:7]
	v_add_co_u32_e32 v65, vcc, 0x3000, v196
	v_add_u32_e32 v1, s2, v1
	v_addc_co_u32_e32 v66, vcc, 0, v197, vcc
	global_load_dwordx2 v[0:1], v[0:1], off
	v_mul_f32_e32 v76, v16, v24
	global_load_dwordx2 v[65:66], v[65:66], off offset:792
	v_fmac_f32_e32 v76, v15, v23
	v_mul_f32_e32 v15, v15, v24
	v_fma_f32 v77, v16, v23, -v15
	v_mul_f32_e32 v15, v18, v26
	v_mul_f32_e32 v16, v17, v26
	v_fmac_f32_e32 v15, v17, v25
	v_fma_f32 v16, v18, v25, -v16
	ds_write2_b64 v237, v[76:77], v[15:16] offset0:51 offset1:150
	v_mul_f32_e32 v15, v20, v28
	v_mul_f32_e32 v16, v19, v28
	v_mul_f32_e32 v17, v22, v30
	v_mul_f32_e32 v18, v21, v30
	v_fmac_f32_e32 v15, v19, v27
	v_fma_f32 v16, v20, v27, -v16
	v_fmac_f32_e32 v17, v21, v29
	v_fma_f32 v18, v22, v29, -v18
	ds_write2_b64 v8, v[15:16], v[17:18] offset0:121 offset1:220
	v_mul_f32_e32 v15, v32, v40
	v_mul_f32_e32 v16, v31, v40
	;; [unrolled: 1-line block ×4, first 2 shown]
	v_fmac_f32_e32 v15, v31, v39
	v_fma_f32 v16, v32, v39, -v16
	v_fmac_f32_e32 v17, v33, v41
	v_fma_f32 v18, v34, v41, -v18
	v_add_u32_e32 v19, 0xc00, v237
	ds_write2_b64 v19, v[15:16], v[17:18] offset0:63 offset1:162
	v_mul_f32_e32 v15, v36, v44
	v_mul_f32_e32 v16, v35, v44
	v_mul_f32_e32 v17, v38, v46
	v_mul_f32_e32 v18, v37, v46
	v_fmac_f32_e32 v15, v35, v43
	v_fma_f32 v16, v36, v43, -v16
	v_fmac_f32_e32 v17, v37, v45
	v_fma_f32 v18, v38, v45, -v18
	ds_write2_b64 v10, v[15:16], v[17:18] offset0:133 offset1:232
	v_mul_f32_e32 v15, v48, v56
	v_mul_f32_e32 v16, v47, v56
	v_mul_f32_e32 v17, v50, v58
	v_mul_f32_e32 v18, v49, v58
	v_fmac_f32_e32 v15, v47, v55
	v_fma_f32 v16, v48, v55, -v16
	v_fmac_f32_e32 v17, v49, v57
	v_fma_f32 v18, v50, v57, -v18
	;; [unrolled: 9-line block ×3, first 2 shown]
	v_add_u32_e32 v19, 0x2000, v237
	ds_write2_b64 v19, v[15:16], v[17:18] offset0:17 offset1:116
	s_waitcnt vmcnt(6)
	v_mul_f32_e32 v15, v5, v71
	v_fmac_f32_e32 v15, v4, v70
	v_mul_f32_e32 v4, v4, v71
	v_fma_f32 v16, v5, v70, -v4
	s_waitcnt vmcnt(5)
	v_mul_f32_e32 v4, v64, v73
	v_mul_f32_e32 v5, v63, v73
	v_fmac_f32_e32 v4, v63, v72
	v_fma_f32 v5, v64, v72, -v5
	ds_write2_b64 v13, v[15:16], v[4:5] offset0:87 offset1:186
	s_waitcnt vmcnt(4)
	v_mul_f32_e32 v4, v68, v75
	v_mul_f32_e32 v5, v67, v75
	v_fmac_f32_e32 v4, v67, v74
	v_fma_f32 v5, v68, v74, -v5
	s_waitcnt vmcnt(2)
	v_mul_f32_e32 v15, v3, v7
	v_fmac_f32_e32 v15, v2, v6
	v_mul_f32_e32 v2, v2, v7
	v_fma_f32 v16, v3, v6, -v2
	v_add_u32_e32 v2, 0x2c00, v237
	ds_write2_b64 v2, v[4:5], v[15:16] offset0:29 offset1:128
	s_waitcnt vmcnt(0)
	v_mul_f32_e32 v2, v1, v66
	v_fmac_f32_e32 v2, v0, v65
	v_mul_f32_e32 v0, v0, v66
	v_fma_f32 v3, v1, v65, -v0
	ds_write_b64 v237, v[2:3] offset:13080
.LBB0_3:
	s_or_b64 exec, exec, s[16:17]
	s_waitcnt lgkmcnt(0)
	; wave barrier
	s_waitcnt lgkmcnt(0)
	ds_read2_b64 v[60:63], v237 offset1:99
	ds_read2_b64 v[52:55], v8 offset0:70 offset1:169
	ds_read2_b64 v[44:47], v9 offset0:140 offset1:239
	;; [unrolled: 1-line block ×7, first 2 shown]
	ds_read_b64 v[68:69], v237 offset:12672
	s_load_dwordx2 s[2:3], s[4:5], 0x8
	v_mov_b32_e32 v0, 0
	v_mov_b32_e32 v1, 0
                                        ; implicit-def: $vgpr6
                                        ; implicit-def: $vgpr24
                                        ; implicit-def: $vgpr28
                                        ; implicit-def: $vgpr64
                                        ; implicit-def: $vgpr22
                                        ; implicit-def: $vgpr18
                                        ; implicit-def: $vgpr14
                                        ; implicit-def: $vgpr10
	s_and_saveexec_b64 s[4:5], s[0:1]
	s_cbranch_execz .LBB0_5
; %bb.4:
	v_add_u32_e32 v4, 0x400, v237
	ds_read2_b64 v[8:11], v4 offset0:121 offset1:220
	v_add_u32_e32 v4, 0xc00, v237
	ds_read2_b64 v[12:15], v4 offset0:63 offset1:162
	;; [unrolled: 2-line block ×4, first 2 shown]
	v_add_u32_e32 v4, 0x2000, v237
	v_add_u32_e32 v24, 0x2400, v237
	;; [unrolled: 1-line block ×3, first 2 shown]
	ds_read2_b64 v[0:3], v237 offset0:51 offset1:150
	ds_read2_b64 v[4:7], v4 offset0:17 offset1:116
	;; [unrolled: 1-line block ×4, first 2 shown]
	ds_read_b64 v[64:65], v237 offset:13080
.LBB0_5:
	s_or_b64 exec, exec, s[4:5]
	s_waitcnt lgkmcnt(0)
	v_add_f32_e32 v66, v60, v62
	v_add_f32_e32 v67, v61, v63
	;; [unrolled: 1-line block ×31, first 2 shown]
	v_sub_f32_e32 v62, v62, v68
	v_sub_f32_e32 v63, v63, v69
	v_add_f32_e32 v67, v67, v59
	v_add_f32_e32 v66, v66, v68
	v_mul_f32_e32 v68, 0xbeb8f4ab, v63
	s_mov_b32 s12, 0x3f6eb680
	v_mul_f32_e32 v72, 0xbeb8f4ab, v62
	v_mul_f32_e32 v74, 0xbf2c7751, v63
	s_mov_b32 s13, 0x3f3d2fb0
	v_mul_f32_e32 v76, 0xbf2c7751, v62
	;; [unrolled: 3-line block ×8, first 2 shown]
	v_add_f32_e32 v67, v67, v69
	v_fma_f32 v69, v70, s12, -v68
	v_mov_b32_e32 v73, v72
	v_fmac_f32_e32 v68, 0x3f6eb680, v70
	v_fma_f32 v75, v70, s13, -v74
	v_mov_b32_e32 v77, v76
	v_fmac_f32_e32 v74, 0x3f3d2fb0, v70
	;; [unrolled: 3-line block ×8, first 2 shown]
	v_add_f32_e32 v69, v60, v69
	v_fmac_f32_e32 v73, 0x3f6eb680, v71
	v_add_f32_e32 v68, v60, v68
	v_fma_f32 v72, v71, s12, -v72
	v_add_f32_e32 v75, v60, v75
	v_fmac_f32_e32 v77, 0x3f3d2fb0, v71
	v_add_f32_e32 v74, v60, v74
	v_fma_f32 v76, v71, s13, -v76
	;; [unrolled: 4-line block ×8, first 2 shown]
	v_add_f32_e32 v63, v59, v53
	v_sub_f32_e32 v53, v53, v59
	v_add_f32_e32 v73, v61, v73
	v_add_f32_e32 v72, v61, v72
	;; [unrolled: 1-line block ×17, first 2 shown]
	v_sub_f32_e32 v52, v52, v58
	v_mul_f32_e32 v58, 0xbf2c7751, v53
	v_fma_f32 v59, v62, s13, -v58
	v_add_f32_e32 v59, v59, v69
	v_mul_f32_e32 v69, 0xbf2c7751, v52
	v_fmac_f32_e32 v58, 0x3f3d2fb0, v62
	v_mov_b32_e32 v70, v69
	v_add_f32_e32 v58, v58, v68
	v_fma_f32 v68, v63, s13, -v69
	v_mul_f32_e32 v69, 0xbf7ee86f, v53
	v_fmac_f32_e32 v70, 0x3f3d2fb0, v63
	v_add_f32_e32 v68, v68, v72
	v_fma_f32 v71, v62, s17, -v69
	v_mul_f32_e32 v72, 0xbf7ee86f, v52
	v_fmac_f32_e32 v69, 0x3dbcf732, v62
	v_add_f32_e32 v70, v70, v73
	v_mov_b32_e32 v73, v72
	v_add_f32_e32 v69, v69, v74
	v_fma_f32 v72, v63, s17, -v72
	v_mul_f32_e32 v74, 0xbf4c4adb, v53
	v_add_f32_e32 v71, v71, v75
	v_fmac_f32_e32 v73, 0x3dbcf732, v63
	v_add_f32_e32 v72, v72, v76
	v_fma_f32 v75, v62, s19, -v74
	v_mul_f32_e32 v76, 0xbf4c4adb, v52
	v_fmac_f32_e32 v74, 0xbf1a4643, v62
	v_add_f32_e32 v73, v73, v77
	v_mov_b32_e32 v77, v76
	v_add_f32_e32 v74, v74, v78
	v_fma_f32 v76, v63, s19, -v76
	v_mul_f32_e32 v78, 0xbe3c28d5, v53
	v_add_f32_e32 v75, v75, v79
	v_fmac_f32_e32 v77, 0xbf1a4643, v63
	v_add_f32_e32 v76, v76, v80
	v_fma_f32 v79, v62, s21, -v78
	v_mul_f32_e32 v80, 0xbe3c28d5, v52
	v_fmac_f32_e32 v78, 0xbf7ba420, v62
	v_add_f32_e32 v77, v77, v81
	v_mov_b32_e32 v81, v80
	v_add_f32_e32 v78, v78, v82
	v_fma_f32 v80, v63, s21, -v80
	v_mul_f32_e32 v82, 0x3f06c442, v53
	v_add_f32_e32 v79, v79, v83
	v_fmac_f32_e32 v81, 0xbf7ba420, v63
	v_add_f32_e32 v80, v80, v84
	v_fma_f32 v83, v62, s20, -v82
	v_mul_f32_e32 v84, 0x3f06c442, v52
	v_fmac_f32_e32 v82, 0xbf59a7d5, v62
	v_add_f32_e32 v81, v81, v85
	v_mov_b32_e32 v85, v84
	v_add_f32_e32 v82, v82, v86
	v_fma_f32 v84, v63, s20, -v84
	v_mul_f32_e32 v86, 0x3f763a35, v53
	v_add_f32_e32 v83, v83, v87
	v_fmac_f32_e32 v85, 0xbf59a7d5, v63
	v_add_f32_e32 v84, v84, v88
	v_fma_f32 v87, v62, s18, -v86
	v_mul_f32_e32 v88, 0x3f763a35, v52
	v_fmac_f32_e32 v86, 0xbe8c1d8e, v62
	v_add_f32_e32 v85, v85, v89
	v_mov_b32_e32 v89, v88
	v_add_f32_e32 v86, v86, v90
	v_fma_f32 v88, v63, s18, -v88
	v_mul_f32_e32 v90, 0x3f65296c, v53
	v_add_f32_e32 v87, v87, v91
	v_add_f32_e32 v88, v88, v92
	v_fma_f32 v91, v62, s16, -v90
	v_mul_f32_e32 v92, 0x3f65296c, v52
	v_mul_f32_e32 v52, 0x3eb8f4ab, v52
	v_add_f32_e32 v91, v91, v95
	v_fmac_f32_e32 v90, 0x3ee437d1, v62
	v_mul_f32_e32 v53, 0x3eb8f4ab, v53
	v_mov_b32_e32 v95, v52
	v_fma_f32 v52, v63, s12, -v52
	v_add_f32_e32 v90, v90, v94
	v_fma_f32 v94, v62, s12, -v53
	v_fmac_f32_e32 v53, 0x3f6eb680, v62
	v_add_f32_e32 v52, v52, v61
	v_add_f32_e32 v61, v57, v55
	v_sub_f32_e32 v55, v55, v57
	v_add_f32_e32 v53, v53, v60
	v_add_f32_e32 v60, v56, v54
	v_sub_f32_e32 v54, v54, v56
	v_mul_f32_e32 v56, 0xbf65296c, v55
	v_fma_f32 v57, v60, s16, -v56
	v_fmac_f32_e32 v89, 0xbe8c1d8e, v63
	v_add_f32_e32 v57, v57, v59
	v_mul_f32_e32 v59, 0xbf65296c, v54
	v_fmac_f32_e32 v56, 0x3ee437d1, v60
	v_add_f32_e32 v89, v89, v93
	v_mov_b32_e32 v93, v92
	v_mov_b32_e32 v62, v59
	v_add_f32_e32 v56, v56, v58
	v_fma_f32 v58, v61, s16, -v59
	v_mul_f32_e32 v59, 0xbf4c4adb, v55
	v_fmac_f32_e32 v93, 0x3ee437d1, v63
	v_fma_f32 v92, v63, s16, -v92
	v_fmac_f32_e32 v95, 0x3f6eb680, v63
	v_fma_f32 v63, v60, s19, -v59
	v_fmac_f32_e32 v59, 0xbf1a4643, v60
	v_fmac_f32_e32 v62, 0x3ee437d1, v61
	v_add_f32_e32 v58, v58, v68
	v_mul_f32_e32 v68, 0xbf4c4adb, v54
	v_add_f32_e32 v59, v59, v69
	v_mul_f32_e32 v69, 0x3e3c28d5, v55
	v_add_f32_e32 v62, v62, v70
	v_add_f32_e32 v63, v63, v71
	v_mov_b32_e32 v70, v68
	v_fma_f32 v68, v61, s19, -v68
	v_fma_f32 v71, v60, s21, -v69
	v_fmac_f32_e32 v69, 0xbf7ba420, v60
	v_fmac_f32_e32 v70, 0xbf1a4643, v61
	v_add_f32_e32 v68, v68, v72
	v_mul_f32_e32 v72, 0x3e3c28d5, v54
	v_add_f32_e32 v69, v69, v74
	v_mul_f32_e32 v74, 0x3f763a35, v55
	v_add_f32_e32 v70, v70, v73
	v_add_f32_e32 v71, v71, v75
	v_mov_b32_e32 v73, v72
	v_fma_f32 v72, v61, s21, -v72
	;; [unrolled: 11-line block ×5, first 2 shown]
	v_fma_f32 v87, v60, s17, -v86
	v_fmac_f32_e32 v86, 0x3dbcf732, v60
	v_mul_f32_e32 v55, 0xbf06c442, v55
	v_add_f32_e32 v84, v84, v88
	v_mul_f32_e32 v88, 0xbf7ee86f, v54
	v_add_f32_e32 v86, v86, v90
	v_fma_f32 v90, v60, s20, -v55
	v_mul_f32_e32 v54, 0xbf06c442, v54
	v_fmac_f32_e32 v55, 0xbf59a7d5, v60
	v_add_f32_e32 v87, v87, v91
	v_mov_b32_e32 v91, v54
	v_add_f32_e32 v53, v55, v53
	v_fma_f32 v54, v61, s20, -v54
	v_add_f32_e32 v55, v51, v45
	v_sub_f32_e32 v45, v45, v51
	v_add_f32_e32 v52, v54, v52
	v_add_f32_e32 v54, v50, v44
	v_sub_f32_e32 v44, v44, v50
	v_mul_f32_e32 v50, 0xbf7ee86f, v45
	v_fma_f32 v51, v54, s17, -v50
	v_fmac_f32_e32 v85, 0x3f6eb680, v61
	v_add_f32_e32 v51, v51, v57
	v_mul_f32_e32 v57, 0xbf7ee86f, v44
	v_fmac_f32_e32 v50, 0x3dbcf732, v54
	v_add_f32_e32 v85, v85, v89
	v_mov_b32_e32 v89, v88
	v_mov_b32_e32 v60, v57
	v_add_f32_e32 v50, v50, v56
	v_fma_f32 v56, v55, s17, -v57
	v_mul_f32_e32 v57, 0xbe3c28d5, v45
	v_fmac_f32_e32 v89, 0x3dbcf732, v61
	v_fma_f32 v88, v61, s17, -v88
	v_fmac_f32_e32 v91, 0xbf59a7d5, v61
	v_fmac_f32_e32 v60, 0x3dbcf732, v55
	v_add_f32_e32 v56, v56, v58
	v_fma_f32 v58, v54, s21, -v57
	v_mul_f32_e32 v61, 0xbe3c28d5, v44
	v_fmac_f32_e32 v57, 0xbf7ba420, v54
	v_add_f32_e32 v60, v60, v62
	v_mov_b32_e32 v62, v61
	v_add_f32_e32 v57, v57, v59
	v_fma_f32 v59, v55, s21, -v61
	v_mul_f32_e32 v61, 0x3f763a35, v45
	v_add_f32_e32 v58, v58, v63
	v_fma_f32 v63, v54, s18, -v61
	v_fmac_f32_e32 v61, 0xbe8c1d8e, v54
	v_fmac_f32_e32 v62, 0xbf7ba420, v55
	v_add_f32_e32 v59, v59, v68
	v_mul_f32_e32 v68, 0x3f763a35, v44
	v_add_f32_e32 v61, v61, v69
	v_mul_f32_e32 v69, 0x3eb8f4ab, v45
	v_add_f32_e32 v62, v62, v70
	v_add_f32_e32 v63, v63, v71
	v_mov_b32_e32 v70, v68
	v_fma_f32 v68, v55, s18, -v68
	v_fma_f32 v71, v54, s12, -v69
	v_fmac_f32_e32 v69, 0x3f6eb680, v54
	v_fmac_f32_e32 v70, 0xbe8c1d8e, v55
	v_add_f32_e32 v68, v68, v72
	v_mul_f32_e32 v72, 0x3eb8f4ab, v44
	v_add_f32_e32 v69, v69, v74
	v_mul_f32_e32 v74, 0xbf65296c, v45
	v_add_f32_e32 v70, v70, v73
	v_add_f32_e32 v71, v71, v75
	v_mov_b32_e32 v73, v72
	v_fma_f32 v72, v55, s12, -v72
	;; [unrolled: 11-line block ×4, first 2 shown]
	v_fma_f32 v83, v54, s19, -v82
	v_fmac_f32_e32 v82, 0xbf1a4643, v54
	v_mul_f32_e32 v45, 0x3f2c7751, v45
	v_add_f32_e32 v80, v80, v84
	v_mul_f32_e32 v84, 0x3f4c4adb, v44
	v_add_f32_e32 v82, v82, v86
	v_fma_f32 v86, v54, s13, -v45
	v_mul_f32_e32 v44, 0x3f2c7751, v44
	v_fmac_f32_e32 v45, 0x3f3d2fb0, v54
	v_add_f32_e32 v83, v83, v87
	v_mov_b32_e32 v87, v44
	v_add_f32_e32 v45, v45, v53
	v_fma_f32 v44, v55, s13, -v44
	v_add_f32_e32 v53, v49, v47
	v_sub_f32_e32 v47, v47, v49
	v_add_f32_e32 v44, v44, v52
	v_add_f32_e32 v52, v48, v46
	v_sub_f32_e32 v46, v46, v48
	v_mul_f32_e32 v48, 0xbf763a35, v47
	v_fma_f32 v49, v52, s18, -v48
	v_fmac_f32_e32 v81, 0xbf59a7d5, v55
	v_add_f32_e32 v49, v49, v51
	v_mul_f32_e32 v51, 0xbf763a35, v46
	v_fmac_f32_e32 v48, 0xbe8c1d8e, v52
	v_add_f32_e32 v81, v81, v85
	v_mov_b32_e32 v85, v84
	v_mov_b32_e32 v54, v51
	v_add_f32_e32 v48, v48, v50
	v_fma_f32 v50, v53, s18, -v51
	v_mul_f32_e32 v51, 0x3f06c442, v47
	v_fmac_f32_e32 v85, 0xbf1a4643, v55
	v_fma_f32 v84, v55, s19, -v84
	v_fmac_f32_e32 v87, 0x3f3d2fb0, v55
	v_add_f32_e32 v50, v50, v56
	v_fma_f32 v55, v52, s20, -v51
	v_mul_f32_e32 v56, 0x3f06c442, v46
	v_fmac_f32_e32 v51, 0xbf59a7d5, v52
	v_add_f32_e32 v55, v55, v58
	v_mov_b32_e32 v58, v56
	v_add_f32_e32 v51, v51, v57
	v_fma_f32 v56, v53, s20, -v56
	v_mul_f32_e32 v57, 0x3f2c7751, v47
	v_fmac_f32_e32 v54, 0xbe8c1d8e, v53
	v_add_f32_e32 v56, v56, v59
	v_fma_f32 v59, v52, s13, -v57
	v_fmac_f32_e32 v57, 0x3f3d2fb0, v52
	v_add_f32_e32 v54, v54, v60
	v_fmac_f32_e32 v58, 0xbf59a7d5, v53
	v_mul_f32_e32 v60, 0x3f2c7751, v46
	v_add_f32_e32 v57, v57, v61
	v_mul_f32_e32 v61, 0xbf65296c, v47
	v_add_f32_e32 v58, v58, v62
	v_add_f32_e32 v59, v59, v63
	v_mov_b32_e32 v62, v60
	v_fma_f32 v60, v53, s13, -v60
	v_fma_f32 v63, v52, s16, -v61
	v_fmac_f32_e32 v61, 0x3ee437d1, v52
	v_fmac_f32_e32 v62, 0x3f3d2fb0, v53
	v_add_f32_e32 v60, v60, v68
	v_mul_f32_e32 v68, 0xbf65296c, v46
	v_add_f32_e32 v61, v61, v69
	v_mul_f32_e32 v69, 0xbe3c28d5, v47
	v_add_f32_e32 v62, v62, v70
	v_add_f32_e32 v63, v63, v71
	v_mov_b32_e32 v70, v68
	v_fma_f32 v68, v53, s16, -v68
	v_fma_f32 v71, v52, s21, -v69
	v_fmac_f32_e32 v69, 0xbf7ba420, v52
	v_fmac_f32_e32 v70, 0x3ee437d1, v53
	v_add_f32_e32 v68, v68, v72
	;; [unrolled: 11-line block ×3, first 2 shown]
	v_mul_f32_e32 v76, 0x3f7ee86f, v46
	v_add_f32_e32 v74, v74, v78
	v_mul_f32_e32 v78, 0xbeb8f4ab, v47
	v_add_f32_e32 v73, v73, v77
	v_add_f32_e32 v75, v75, v79
	v_mov_b32_e32 v77, v76
	v_fma_f32 v76, v53, s17, -v76
	v_fma_f32 v79, v52, s12, -v78
	v_fmac_f32_e32 v78, 0x3f6eb680, v52
	v_mul_f32_e32 v47, 0xbf4c4adb, v47
	v_add_f32_e32 v76, v76, v80
	v_mul_f32_e32 v80, 0xbeb8f4ab, v46
	v_add_f32_e32 v78, v78, v82
	v_fma_f32 v82, v52, s19, -v47
	v_mul_f32_e32 v46, 0xbf4c4adb, v46
	v_fmac_f32_e32 v47, 0xbf1a4643, v52
	v_add_f32_e32 v79, v79, v83
	v_mov_b32_e32 v83, v46
	v_add_f32_e32 v45, v47, v45
	v_fma_f32 v46, v53, s19, -v46
	v_add_f32_e32 v47, v43, v37
	v_sub_f32_e32 v37, v37, v43
	v_add_f32_e32 v44, v46, v44
	v_add_f32_e32 v46, v42, v36
	v_sub_f32_e32 v36, v36, v42
	v_mul_f32_e32 v42, 0xbf4c4adb, v37
	v_fma_f32 v43, v46, s19, -v42
	v_fmac_f32_e32 v77, 0x3dbcf732, v53
	v_add_f32_e32 v43, v43, v49
	v_mul_f32_e32 v49, 0xbf4c4adb, v36
	v_fmac_f32_e32 v42, 0xbf1a4643, v46
	v_add_f32_e32 v77, v77, v81
	v_mov_b32_e32 v81, v80
	v_mov_b32_e32 v52, v49
	v_add_f32_e32 v42, v42, v48
	v_fma_f32 v48, v47, s19, -v49
	v_mul_f32_e32 v49, 0x3f763a35, v37
	v_fmac_f32_e32 v81, 0x3f6eb680, v53
	v_fma_f32 v80, v53, s12, -v80
	v_fmac_f32_e32 v83, 0xbf1a4643, v53
	v_fmac_f32_e32 v52, 0xbf1a4643, v47
	v_add_f32_e32 v48, v48, v50
	v_fma_f32 v50, v46, s18, -v49
	v_mul_f32_e32 v53, 0x3f763a35, v36
	v_fmac_f32_e32 v49, 0xbe8c1d8e, v46
	v_add_f32_e32 v52, v52, v54
	v_mov_b32_e32 v54, v53
	v_add_f32_e32 v49, v49, v51
	v_fma_f32 v51, v47, s18, -v53
	v_mul_f32_e32 v53, 0xbeb8f4ab, v37
	v_add_f32_e32 v50, v50, v55
	v_fma_f32 v55, v46, s12, -v53
	v_fmac_f32_e32 v53, 0x3f6eb680, v46
	v_fmac_f32_e32 v54, 0xbe8c1d8e, v47
	v_add_f32_e32 v51, v51, v56
	v_mul_f32_e32 v56, 0xbeb8f4ab, v36
	v_add_f32_e32 v53, v53, v57
	v_mul_f32_e32 v57, 0xbf06c442, v37
	v_add_f32_e32 v54, v54, v58
	v_add_f32_e32 v55, v55, v59
	v_mov_b32_e32 v58, v56
	v_fma_f32 v56, v47, s12, -v56
	v_fma_f32 v59, v46, s20, -v57
	v_fmac_f32_e32 v57, 0xbf59a7d5, v46
	v_fmac_f32_e32 v58, 0x3f6eb680, v47
	v_add_f32_e32 v56, v56, v60
	v_mul_f32_e32 v60, 0xbf06c442, v36
	v_add_f32_e32 v57, v57, v61
	v_mul_f32_e32 v61, 0x3f7ee86f, v37
	v_add_f32_e32 v58, v58, v62
	v_add_f32_e32 v59, v59, v63
	v_mov_b32_e32 v62, v60
	v_fma_f32 v60, v47, s20, -v60
	v_fma_f32 v63, v46, s17, -v61
	v_fmac_f32_e32 v61, 0x3dbcf732, v46
	v_fmac_f32_e32 v62, 0xbf59a7d5, v47
	v_add_f32_e32 v60, v60, v68
	v_mul_f32_e32 v68, 0x3f7ee86f, v36
	v_add_f32_e32 v61, v61, v69
	v_mul_f32_e32 v69, 0xbf2c7751, v37
	v_add_f32_e32 v62, v62, v70
	v_add_f32_e32 v63, v63, v71
	v_mov_b32_e32 v70, v68
	v_fma_f32 v68, v47, s17, -v68
	v_fma_f32 v71, v46, s13, -v69
	v_fmac_f32_e32 v69, 0x3f3d2fb0, v46
	v_fmac_f32_e32 v70, 0x3dbcf732, v47
	v_add_f32_e32 v68, v68, v72
	v_mul_f32_e32 v72, 0xbf2c7751, v36
	v_add_f32_e32 v69, v69, v74
	v_mul_f32_e32 v74, 0xbe3c28d5, v37
	v_add_f32_e32 v70, v70, v73
	v_add_f32_e32 v71, v71, v75
	v_mov_b32_e32 v73, v72
	v_fma_f32 v72, v47, s13, -v72
	v_fma_f32 v75, v46, s21, -v74
	v_fmac_f32_e32 v74, 0xbf7ba420, v46
	v_mul_f32_e32 v37, 0x3f65296c, v37
	v_add_f32_e32 v72, v72, v76
	v_mul_f32_e32 v76, 0xbe3c28d5, v36
	v_add_f32_e32 v74, v74, v78
	v_fma_f32 v78, v46, s16, -v37
	v_mul_f32_e32 v36, 0x3f65296c, v36
	v_fmac_f32_e32 v37, 0x3ee437d1, v46
	v_add_f32_e32 v75, v75, v79
	v_mov_b32_e32 v79, v36
	v_add_f32_e32 v37, v37, v45
	v_fma_f32 v36, v47, s16, -v36
	v_add_f32_e32 v45, v41, v39
	v_sub_f32_e32 v39, v39, v41
	v_add_f32_e32 v36, v36, v44
	v_add_f32_e32 v44, v40, v38
	v_sub_f32_e32 v38, v38, v40
	v_mul_f32_e32 v40, 0xbf06c442, v39
	v_fma_f32 v41, v44, s20, -v40
	v_fmac_f32_e32 v73, 0x3f3d2fb0, v47
	v_add_f32_e32 v41, v41, v43
	v_mul_f32_e32 v43, 0xbf06c442, v38
	v_fmac_f32_e32 v40, 0xbf59a7d5, v44
	v_add_f32_e32 v73, v73, v77
	v_mov_b32_e32 v77, v76
	v_mov_b32_e32 v46, v43
	v_add_f32_e32 v40, v40, v42
	v_fma_f32 v42, v45, s20, -v43
	v_mul_f32_e32 v43, 0x3f65296c, v39
	v_fmac_f32_e32 v77, 0xbf7ba420, v47
	v_fma_f32 v76, v47, s21, -v76
	v_fmac_f32_e32 v79, 0x3ee437d1, v47
	v_add_f32_e32 v42, v42, v48
	v_fma_f32 v47, v44, s16, -v43
	v_mul_f32_e32 v48, 0x3f65296c, v38
	v_fmac_f32_e32 v43, 0x3ee437d1, v44
	v_fmac_f32_e32 v46, 0xbf59a7d5, v45
	v_add_f32_e32 v47, v47, v50
	v_mov_b32_e32 v50, v48
	v_add_f32_e32 v43, v43, v49
	v_fma_f32 v48, v45, s16, -v48
	v_mul_f32_e32 v49, 0xbf7ee86f, v39
	v_add_f32_e32 v46, v46, v52
	v_fmac_f32_e32 v50, 0x3ee437d1, v45
	v_add_f32_e32 v48, v48, v51
	v_fma_f32 v51, v44, s17, -v49
	v_mul_f32_e32 v52, 0xbf7ee86f, v38
	v_fmac_f32_e32 v49, 0x3dbcf732, v44
	v_add_f32_e32 v50, v50, v54
	v_mov_b32_e32 v54, v52
	v_add_f32_e32 v49, v49, v53
	v_fma_f32 v52, v45, s17, -v52
	v_mul_f32_e32 v53, 0x3f4c4adb, v39
	v_add_f32_e32 v51, v51, v55
	v_fmac_f32_e32 v54, 0x3dbcf732, v45
	v_add_f32_e32 v52, v52, v56
	v_fma_f32 v55, v44, s19, -v53
	v_mul_f32_e32 v56, 0x3f4c4adb, v38
	;; [unrolled: 11-line block ×3, first 2 shown]
	v_fmac_f32_e32 v57, 0x3f6eb680, v44
	v_add_f32_e32 v94, v94, v98
	v_add_f32_e32 v58, v58, v62
	v_mov_b32_e32 v62, v60
	v_add_f32_e32 v57, v57, v61
	v_fma_f32 v60, v45, s12, -v60
	v_mul_f32_e32 v61, 0xbe3c28d5, v39
	v_add_f32_e32 v93, v93, v97
	v_add_f32_e32 v95, v95, v99
	;; [unrolled: 1-line block ×4, first 2 shown]
	v_fmac_f32_e32 v62, 0x3f6eb680, v45
	v_add_f32_e32 v60, v60, v68
	v_fma_f32 v63, v44, s21, -v61
	v_mul_f32_e32 v68, 0xbe3c28d5, v38
	v_fmac_f32_e32 v61, 0xbf7ba420, v44
	v_add_f32_e32 v92, v92, v96
	v_add_f32_e32 v89, v89, v93
	;; [unrolled: 1-line block ×5, first 2 shown]
	v_mov_b32_e32 v70, v68
	v_add_f32_e32 v61, v61, v69
	v_fma_f32 v68, v45, s21, -v68
	v_mul_f32_e32 v69, 0x3f2c7751, v39
	v_add_f32_e32 v88, v88, v92
	v_add_f32_e32 v85, v85, v89
	;; [unrolled: 1-line block ×5, first 2 shown]
	v_fmac_f32_e32 v70, 0xbf7ba420, v45
	v_add_f32_e32 v68, v68, v72
	v_fma_f32 v71, v44, s13, -v69
	v_mul_f32_e32 v72, 0x3f2c7751, v38
	v_fmac_f32_e32 v69, 0x3f3d2fb0, v44
	v_mul_f32_e32 v39, 0xbf763a35, v39
	v_mul_f32_e32 v38, 0xbf763a35, v38
	v_add_f32_e32 v84, v84, v88
	v_add_f32_e32 v81, v81, v85
	;; [unrolled: 1-line block ×6, first 2 shown]
	v_mov_b32_e32 v73, v72
	v_add_f32_e32 v69, v69, v74
	v_fma_f32 v74, v44, s18, -v39
	v_mov_b32_e32 v75, v38
	v_add_f32_e32 v80, v80, v84
	v_add_f32_e32 v77, v77, v81
	;; [unrolled: 1-line block ×3, first 2 shown]
	v_fmac_f32_e32 v73, 0x3f3d2fb0, v45
	v_add_f32_e32 v74, v74, v78
	v_fmac_f32_e32 v75, 0xbe8c1d8e, v45
	v_sub_f32_e32 v78, v32, v34
	v_add_f32_e32 v76, v76, v80
	v_add_f32_e32 v73, v73, v77
	v_fma_f32 v72, v45, s13, -v72
	v_add_f32_e32 v75, v75, v79
	v_fmac_f32_e32 v39, 0xbe8c1d8e, v44
	v_add_f32_e32 v77, v35, v33
	v_sub_f32_e32 v79, v33, v35
	v_mul_f32_e32 v35, 0xbe3c28d5, v78
	v_add_f32_e32 v72, v72, v76
	v_add_f32_e32 v44, v39, v37
	v_fma_f32 v37, v45, s18, -v38
	v_add_f32_e32 v76, v34, v32
	v_mul_f32_e32 v34, 0xbe3c28d5, v79
	v_mov_b32_e32 v33, v35
	v_fma_f32 v35, v77, s21, -v35
	v_mul_f32_e32 v38, 0x3eb8f4ab, v79
	v_add_f32_e32 v45, v37, v36
	v_fma_f32 v32, v76, s21, -v34
	v_fmac_f32_e32 v34, 0xbf7ba420, v76
	v_add_f32_e32 v35, v35, v42
	v_fma_f32 v36, v76, s12, -v38
	v_fmac_f32_e32 v38, 0x3f6eb680, v76
	v_mul_f32_e32 v42, 0xbf06c442, v79
	v_add_f32_e32 v34, v34, v40
	v_add_f32_e32 v38, v38, v43
	v_fma_f32 v40, v76, s20, -v42
	v_mul_f32_e32 v43, 0xbf06c442, v78
	v_fmac_f32_e32 v42, 0xbf59a7d5, v76
	v_add_f32_e32 v94, v42, v49
	v_fma_f32 v42, v77, s20, -v43
	v_add_f32_e32 v95, v42, v52
	v_mul_f32_e32 v42, 0x3f2c7751, v79
	v_add_f32_e32 v32, v32, v41
	v_mov_b32_e32 v41, v43
	v_fma_f32 v43, v76, s13, -v42
	v_add_f32_e32 v96, v43, v55
	v_mul_f32_e32 v43, 0x3f2c7751, v78
	v_fmac_f32_e32 v42, 0x3f3d2fb0, v76
	v_add_f32_e32 v98, v42, v53
	v_fma_f32 v42, v77, s13, -v43
	v_fmac_f32_e32 v33, 0xbf7ba420, v77
	v_add_f32_e32 v99, v42, v56
	v_mul_f32_e32 v42, 0xbf4c4adb, v79
	v_add_f32_e32 v33, v33, v46
	v_mov_b32_e32 v46, v43
	v_fma_f32 v43, v76, s19, -v42
	v_add_f32_e32 v100, v43, v59
	v_mul_f32_e32 v43, 0xbf4c4adb, v78
	v_fmac_f32_e32 v42, 0xbf1a4643, v76
	v_add_f32_e32 v102, v42, v57
	v_fma_f32 v42, v77, s19, -v43
	v_fmac_f32_e32 v46, 0x3f3d2fb0, v77
	;; [unrolled: 11-line block ×4, first 2 shown]
	v_add_f32_e32 v111, v42, v72
	v_mul_f32_e32 v42, 0x3f7ee86f, v79
	v_add_f32_e32 v105, v46, v70
	v_mov_b32_e32 v46, v43
	v_fma_f32 v43, v76, s17, -v42
	v_add_f32_e32 v112, v43, v74
	v_mul_f32_e32 v43, 0x3f7ee86f, v78
	v_fmac_f32_e32 v42, 0x3dbcf732, v76
	v_sub_f32_e32 v70, v3, v65
	v_fmac_f32_e32 v46, 0xbe8c1d8e, v77
	v_add_f32_e32 v114, v42, v44
	v_fma_f32 v42, v77, s17, -v43
	v_mul_f32_e32 v58, 0xbeb8f4ab, v70
	v_add_f32_e32 v109, v46, v73
	v_mov_b32_e32 v46, v43
	v_add_f32_e32 v115, v42, v45
	v_add_f32_e32 v42, v64, v2
	v_sub_f32_e32 v80, v2, v64
	v_mov_b32_e32 v43, v58
	v_mul_f32_e32 v39, 0x3eb8f4ab, v78
	v_add_f32_e32 v45, v65, v3
	v_mul_f32_e32 v60, 0xbeb8f4ab, v80
	v_fmac_f32_e32 v43, 0x3f6eb680, v42
	v_sub_f32_e32 v73, v9, v31
	v_mov_b32_e32 v37, v39
	v_fma_f32 v39, v77, s12, -v39
	v_fmac_f32_e32 v46, 0x3dbcf732, v77
	v_add_f32_e32 v44, v43, v0
	v_fma_f32 v43, v45, s12, -v60
	v_mul_f32_e32 v59, 0xbf2c7751, v73
	v_add_f32_e32 v39, v39, v48
	v_add_f32_e32 v113, v46, v75
	;; [unrolled: 1-line block ×4, first 2 shown]
	v_sub_f32_e32 v83, v8, v30
	v_mov_b32_e32 v48, v59
	v_add_f32_e32 v36, v36, v47
	v_add_f32_e32 v47, v31, v9
	v_mul_f32_e32 v62, 0xbf2c7751, v83
	v_fmac_f32_e32 v48, 0x3f3d2fb0, v43
	v_sub_f32_e32 v76, v11, v29
	v_fmac_f32_e32 v37, 0x3f6eb680, v77
	v_add_f32_e32 v48, v48, v44
	v_fma_f32 v44, v47, s13, -v62
	v_mul_f32_e32 v61, 0xbf65296c, v76
	v_add_f32_e32 v37, v37, v50
	v_add_f32_e32 v46, v44, v46
	;; [unrolled: 1-line block ×3, first 2 shown]
	v_sub_f32_e32 v86, v10, v28
	v_mov_b32_e32 v50, v61
	v_add_f32_e32 v49, v29, v11
	v_mul_f32_e32 v68, 0xbf65296c, v86
	v_fmac_f32_e32 v50, 0x3ee437d1, v44
	v_sub_f32_e32 v78, v13, v27
	v_add_f32_e32 v48, v50, v48
	v_fma_f32 v50, v49, s16, -v68
	v_mul_f32_e32 v63, 0xbf7ee86f, v78
	v_add_f32_e32 v50, v50, v46
	v_add_f32_e32 v46, v26, v12
	v_sub_f32_e32 v88, v12, v26
	v_mov_b32_e32 v52, v63
	v_add_f32_e32 v40, v40, v51
	v_add_f32_e32 v51, v27, v13
	v_mul_f32_e32 v71, 0xbf7ee86f, v88
	v_fmac_f32_e32 v52, 0x3dbcf732, v46
	v_sub_f32_e32 v81, v15, v25
	v_fmac_f32_e32 v41, 0xbf59a7d5, v77
	v_add_f32_e32 v52, v52, v48
	v_fma_f32 v48, v51, s17, -v71
	v_mul_f32_e32 v69, 0xbf763a35, v81
	v_add_f32_e32 v41, v41, v54
	v_add_f32_e32 v50, v48, v50
	;; [unrolled: 1-line block ×3, first 2 shown]
	v_sub_f32_e32 v90, v14, v24
	v_mov_b32_e32 v54, v69
	v_add_f32_e32 v53, v25, v15
	v_mul_f32_e32 v74, 0xbf763a35, v90
	v_fmac_f32_e32 v54, 0xbe8c1d8e, v48
	v_sub_f32_e32 v84, v17, v7
	v_add_f32_e32 v52, v54, v52
	v_fma_f32 v54, v53, s18, -v74
	v_mul_f32_e32 v72, 0xbf4c4adb, v84
	v_add_f32_e32 v54, v54, v50
	v_add_f32_e32 v50, v6, v16
	v_sub_f32_e32 v91, v16, v6
	v_mov_b32_e32 v56, v72
	v_add_f32_e32 v55, v7, v17
	v_mul_f32_e32 v77, 0xbf4c4adb, v91
	v_fmac_f32_e32 v56, 0xbf1a4643, v50
	v_sub_f32_e32 v87, v19, v5
	v_add_f32_e32 v57, v56, v52
	v_fma_f32 v52, v55, s19, -v77
	v_mul_f32_e32 v75, 0xbf06c442, v87
	v_add_f32_e32 v54, v52, v54
	v_add_f32_e32 v52, v4, v18
	v_sub_f32_e32 v92, v18, v4
	v_mov_b32_e32 v79, v75
	v_add_f32_e32 v56, v5, v19
	v_mul_f32_e32 v82, 0xbf06c442, v92
	v_fmac_f32_e32 v79, 0xbf59a7d5, v52
	v_sub_f32_e32 v89, v21, v23
	v_add_f32_e32 v116, v79, v57
	v_fma_f32 v57, v56, s20, -v82
	v_mul_f32_e32 v79, 0xbe3c28d5, v89
	v_add_f32_e32 v117, v57, v54
	v_add_f32_e32 v54, v22, v20
	v_sub_f32_e32 v93, v20, v22
	v_mov_b32_e32 v118, v79
	v_add_f32_e32 v57, v23, v21
	v_mul_f32_e32 v85, 0xbe3c28d5, v93
	v_fmac_f32_e32 v118, 0xbf7ba420, v54
	v_add_f32_e32 v218, v118, v116
	v_fma_f32 v116, v57, s21, -v85
	v_add_f32_e32 v219, v116, v117
	v_mul_lo_u16_e32 v116, 17, v215
	v_add_co_u32_e32 v210, vcc, 51, v215
	v_lshlrev_b32_e32 v240, 3, v116
	s_waitcnt lgkmcnt(0)
	; wave barrier
	ds_write2_b64 v240, v[66:67], v[32:33] offset1:1
	ds_write2_b64 v240, v[36:37], v[40:41] offset0:2 offset1:3
	ds_write2_b64 v240, v[96:97], v[100:101] offset0:4 offset1:5
	ds_write2_b64 v240, v[104:105], v[108:109] offset0:6 offset1:7
	ds_write2_b64 v240, v[112:113], v[114:115] offset0:8 offset1:9
	ds_write2_b64 v240, v[110:111], v[106:107] offset0:10 offset1:11
	ds_write2_b64 v240, v[102:103], v[98:99] offset0:12 offset1:13
	ds_write2_b64 v240, v[94:95], v[38:39] offset0:14 offset1:15
	ds_write_b64 v240, v[34:35] offset:128
	s_and_saveexec_b64 s[4:5], s[0:1]
	s_cbranch_execz .LBB0_7
; %bb.6:
	v_mul_f32_e32 v38, 0xbf59a7d5, v45
	v_mov_b32_e32 v32, v38
	v_mul_f32_e32 v39, 0x3ee437d1, v47
	v_fmac_f32_e32 v32, 0x3f06c442, v80
	v_mov_b32_e32 v33, v39
	v_add_f32_e32 v32, v32, v1
	v_fmac_f32_e32 v33, 0xbf65296c, v83
	v_mul_f32_e32 v40, 0x3dbcf732, v49
	v_add_f32_e32 v32, v33, v32
	v_mov_b32_e32 v33, v40
	v_fmac_f32_e32 v33, 0x3f7ee86f, v86
	v_mul_f32_e32 v41, 0xbf1a4643, v51
	v_add_f32_e32 v32, v33, v32
	v_mov_b32_e32 v33, v41
	;; [unrolled: 4-line block ×7, first 2 shown]
	v_mul_f32_e32 v105, 0x3f65296c, v73
	v_fmac_f32_e32 v32, 0xbf59a7d5, v42
	v_mov_b32_e32 v34, v105
	v_add_f32_e32 v32, v32, v0
	v_fmac_f32_e32 v34, 0x3ee437d1, v43
	v_mul_f32_e32 v114, 0xbf7ee86f, v76
	v_add_f32_e32 v32, v34, v32
	v_mov_b32_e32 v34, v114
	v_fmac_f32_e32 v34, 0x3dbcf732, v44
	v_mul_f32_e32 v115, 0x3f4c4adb, v78
	v_add_f32_e32 v32, v34, v32
	v_mov_b32_e32 v34, v115
	;; [unrolled: 4-line block ×7, first 2 shown]
	v_mul_f32_e32 v37, 0x3f6eb680, v47
	v_fmac_f32_e32 v34, 0x3e3c28d5, v80
	v_mov_b32_e32 v35, v37
	v_add_f32_e32 v34, v34, v1
	v_fmac_f32_e32 v35, 0xbeb8f4ab, v83
	v_mul_f32_e32 v120, 0xbf59a7d5, v49
	v_add_f32_e32 v34, v35, v34
	v_mov_b32_e32 v35, v120
	v_fmac_f32_e32 v35, 0x3f06c442, v86
	v_mul_f32_e32 v121, 0x3f3d2fb0, v51
	v_add_f32_e32 v34, v35, v34
	v_mov_b32_e32 v35, v121
	;; [unrolled: 4-line block ×4, first 2 shown]
	v_fmac_f32_e32 v38, 0xbf06c442, v80
	v_fmac_f32_e32 v35, 0xbf65296c, v91
	v_mul_f32_e32 v124, 0xbe8c1d8e, v56
	v_add_f32_e32 v38, v38, v1
	v_fmac_f32_e32 v39, 0x3f65296c, v83
	v_add_f32_e32 v34, v35, v34
	v_mov_b32_e32 v35, v124
	v_add_f32_e32 v38, v39, v38
	v_fmac_f32_e32 v40, 0xbf7ee86f, v86
	v_fmac_f32_e32 v35, 0x3f763a35, v92
	v_mul_f32_e32 v125, 0x3dbcf732, v57
	v_add_f32_e32 v38, v40, v38
	v_fmac_f32_e32 v41, 0x3f4c4adb, v88
	v_add_f32_e32 v34, v35, v34
	v_mov_b32_e32 v35, v125
	v_add_f32_e32 v38, v41, v38
	v_fmac_f32_e32 v100, 0xbeb8f4ab, v90
	v_fmac_f32_e32 v35, 0xbf7ee86f, v93
	v_mul_f32_e32 v126, 0xbe3c28d5, v70
	v_add_f32_e32 v38, v100, v38
	v_fmac_f32_e32 v101, 0xbe3c28d5, v91
	v_add_f32_e32 v35, v35, v34
	v_mov_b32_e32 v34, v126
	v_mul_f32_e32 v127, 0x3eb8f4ab, v73
	v_add_f32_e32 v38, v101, v38
	v_fmac_f32_e32 v102, 0x3f2c7751, v92
	v_fmac_f32_e32 v34, 0xbf7ba420, v42
	v_mov_b32_e32 v128, v127
	v_add_f32_e32 v38, v102, v38
	v_fmac_f32_e32 v103, 0xbf763a35, v93
	v_add_f32_e32 v34, v34, v0
	v_fmac_f32_e32 v128, 0x3f6eb680, v43
	v_add_f32_e32 v39, v103, v38
	v_fma_f32 v38, v42, s20, -v104
	v_add_f32_e32 v34, v128, v34
	v_mul_f32_e32 v128, 0xbf06c442, v76
	v_add_f32_e32 v38, v38, v0
	v_fma_f32 v40, v43, s16, -v105
	v_mov_b32_e32 v129, v128
	v_fmac_f32_e32 v36, 0xbe3c28d5, v80
	v_add_f32_e32 v38, v40, v38
	v_fma_f32 v40, v44, s17, -v114
	v_fmac_f32_e32 v129, 0xbf59a7d5, v44
	v_add_f32_e32 v36, v36, v1
	v_fmac_f32_e32 v37, 0x3eb8f4ab, v83
	v_add_f32_e32 v38, v40, v38
	v_fma_f32 v40, v46, s19, -v115
	v_add_f32_e32 v34, v129, v34
	v_mul_f32_e32 v129, 0x3f2c7751, v78
	v_add_f32_e32 v36, v37, v36
	v_fmac_f32_e32 v120, 0xbf06c442, v86
	v_add_f32_e32 v38, v40, v38
	v_fma_f32 v40, v48, s12, -v116
	v_mov_b32_e32 v130, v129
	v_add_f32_e32 v36, v120, v36
	v_fmac_f32_e32 v121, 0x3f2c7751, v88
	v_add_f32_e32 v38, v40, v38
	v_fma_f32 v40, v50, s21, -v117
	v_fmac_f32_e32 v130, 0x3f3d2fb0, v46
	v_add_f32_e32 v36, v121, v36
	v_fmac_f32_e32 v122, 0xbf4c4adb, v90
	v_add_f32_e32 v38, v40, v38
	v_fma_f32 v40, v52, s13, -v118
	v_add_f32_e32 v34, v130, v34
	v_mul_f32_e32 v130, 0xbf4c4adb, v81
	v_add_f32_e32 v36, v122, v36
	v_fmac_f32_e32 v123, 0x3f65296c, v91
	v_add_f32_e32 v38, v40, v38
	v_fma_f32 v40, v54, s18, -v119
	v_mul_f32_e32 v114, 0xbf4c4adb, v80
	v_mov_b32_e32 v131, v130
	v_add_f32_e32 v36, v123, v36
	v_fmac_f32_e32 v124, 0xbf763a35, v92
	v_add_f32_e32 v38, v40, v38
	v_mov_b32_e32 v40, v114
	v_mul_f32_e32 v115, 0x3f763a35, v83
	v_fmac_f32_e32 v131, 0xbf1a4643, v48
	v_add_f32_e32 v36, v124, v36
	v_fmac_f32_e32 v125, 0x3f7ee86f, v93
	v_fmac_f32_e32 v40, 0xbf1a4643, v45
	v_mov_b32_e32 v41, v115
	v_add_f32_e32 v34, v131, v34
	v_mul_f32_e32 v131, 0x3f65296c, v84
	v_add_f32_e32 v37, v125, v36
	v_fma_f32 v36, v42, s21, -v126
	v_add_f32_e32 v40, v40, v1
	v_fmac_f32_e32 v41, 0xbe8c1d8e, v47
	v_mul_f32_e32 v116, 0xbeb8f4ab, v86
	v_mov_b32_e32 v132, v131
	v_add_f32_e32 v36, v36, v0
	v_fma_f32 v120, v43, s12, -v127
	v_add_f32_e32 v40, v41, v40
	v_mov_b32_e32 v41, v116
	v_fmac_f32_e32 v132, 0x3ee437d1, v50
	v_add_f32_e32 v36, v120, v36
	v_fma_f32 v120, v44, s20, -v128
	v_fmac_f32_e32 v41, 0x3f6eb680, v49
	v_mul_f32_e32 v117, 0xbf06c442, v88
	v_add_f32_e32 v34, v132, v34
	v_mul_f32_e32 v132, 0xbf763a35, v87
	v_add_f32_e32 v36, v120, v36
	v_fma_f32 v120, v46, s13, -v129
	v_add_f32_e32 v40, v41, v40
	v_mov_b32_e32 v41, v117
	v_mov_b32_e32 v133, v132
	v_add_f32_e32 v36, v120, v36
	v_fma_f32 v120, v48, s19, -v130
	v_fmac_f32_e32 v41, 0xbf59a7d5, v51
	v_mul_f32_e32 v118, 0x3f7ee86f, v90
	v_fmac_f32_e32 v133, 0xbe8c1d8e, v52
	v_add_f32_e32 v36, v120, v36
	v_fma_f32 v120, v50, s16, -v131
	v_add_f32_e32 v40, v41, v40
	v_mov_b32_e32 v41, v118
	v_add_f32_e32 v34, v133, v34
	v_mul_f32_e32 v133, 0x3f7ee86f, v89
	v_add_f32_e32 v36, v120, v36
	v_fma_f32 v120, v52, s18, -v132
	v_fmac_f32_e32 v41, 0x3dbcf732, v53
	v_mul_f32_e32 v119, 0xbf2c7751, v91
	v_add_f32_e32 v36, v120, v36
	v_fma_f32 v120, v54, s17, -v133
	v_add_f32_e32 v40, v41, v40
	v_mov_b32_e32 v41, v119
	v_add_f32_e32 v36, v120, v36
	v_fmac_f32_e32 v41, 0x3f3d2fb0, v55
	v_mul_f32_e32 v120, 0xbe3c28d5, v92
	v_add_f32_e32 v40, v41, v40
	v_mov_b32_e32 v41, v120
	v_fmac_f32_e32 v41, 0xbf7ba420, v56
	v_mul_f32_e32 v121, 0x3f65296c, v93
	v_add_f32_e32 v40, v41, v40
	v_mov_b32_e32 v41, v121
	v_fmac_f32_e32 v41, 0x3ee437d1, v57
	v_mul_f32_e32 v122, 0xbf4c4adb, v70
	v_add_f32_e32 v41, v41, v40
	v_fma_f32 v40, v42, s19, -v122
	v_mul_f32_e32 v123, 0x3f763a35, v73
	v_add_f32_e32 v40, v40, v0
	v_fma_f32 v100, v43, s18, -v123
	;; [unrolled: 3-line block ×8, first 2 shown]
	v_mul_f32_e32 v130, 0xbf763a35, v80
	v_add_f32_e32 v40, v100, v40
	v_mov_b32_e32 v100, v130
	v_mul_f32_e32 v131, 0x3f06c442, v83
	v_fmac_f32_e32 v100, 0xbe8c1d8e, v45
	v_mov_b32_e32 v101, v131
	v_add_f32_e32 v100, v100, v1
	v_fmac_f32_e32 v101, 0xbf59a7d5, v47
	v_mul_f32_e32 v132, 0x3f2c7751, v86
	v_add_f32_e32 v100, v101, v100
	v_mov_b32_e32 v101, v132
	v_mov_b32_e32 v134, v133
	v_fmac_f32_e32 v101, 0x3f3d2fb0, v49
	v_mul_f32_e32 v133, 0xbf65296c, v88
	v_fmac_f32_e32 v134, 0x3dbcf732, v54
	v_add_f32_e32 v100, v101, v100
	v_mov_b32_e32 v101, v133
	v_add_f32_e32 v34, v134, v34
	v_fmac_f32_e32 v101, 0x3ee437d1, v51
	v_mul_f32_e32 v134, 0xbe3c28d5, v90
	v_add_f32_e32 v100, v101, v100
	v_mov_b32_e32 v101, v134
	v_fmac_f32_e32 v101, 0xbf7ba420, v53
	v_mul_f32_e32 v135, 0x3f7ee86f, v91
	v_add_f32_e32 v100, v101, v100
	v_mov_b32_e32 v101, v135
	;; [unrolled: 4-line block ×4, first 2 shown]
	v_fmac_f32_e32 v101, 0xbf1a4643, v57
	v_mul_f32_e32 v138, 0xbf763a35, v70
	v_add_f32_e32 v101, v101, v100
	v_fma_f32 v100, v42, s18, -v138
	v_mul_f32_e32 v139, 0x3f06c442, v73
	v_add_f32_e32 v100, v100, v0
	v_fma_f32 v102, v43, s20, -v139
	;; [unrolled: 3-line block ×8, first 2 shown]
	v_mul_f32_e32 v146, 0xbf7ee86f, v80
	v_add_f32_e32 v100, v102, v100
	v_mov_b32_e32 v102, v146
	v_mul_f32_e32 v147, 0xbe3c28d5, v83
	v_fmac_f32_e32 v102, 0x3dbcf732, v45
	v_mov_b32_e32 v103, v147
	v_add_f32_e32 v102, v102, v1
	v_fmac_f32_e32 v103, 0xbf7ba420, v47
	v_mul_f32_e32 v148, 0x3f763a35, v86
	v_add_f32_e32 v102, v103, v102
	v_mov_b32_e32 v103, v148
	v_fmac_f32_e32 v103, 0xbe8c1d8e, v49
	v_mul_f32_e32 v149, 0x3eb8f4ab, v88
	v_add_f32_e32 v102, v103, v102
	v_mov_b32_e32 v103, v149
	;; [unrolled: 4-line block ×6, first 2 shown]
	v_fmac_f32_e32 v103, 0x3f3d2fb0, v57
	v_mul_f32_e32 v154, 0xbf7ee86f, v70
	v_add_f32_e32 v103, v103, v102
	v_fma_f32 v102, v42, s17, -v154
	v_mul_f32_e32 v155, 0xbe3c28d5, v73
	v_add_f32_e32 v102, v102, v0
	v_fma_f32 v104, v43, s21, -v155
	;; [unrolled: 3-line block ×8, first 2 shown]
	v_mul_f32_e32 v162, 0xbf65296c, v80
	v_add_f32_e32 v102, v104, v102
	v_mov_b32_e32 v104, v162
	v_mul_f32_e32 v163, 0xbf4c4adb, v83
	v_fmac_f32_e32 v104, 0x3ee437d1, v45
	v_mov_b32_e32 v105, v163
	v_add_f32_e32 v104, v104, v1
	v_fmac_f32_e32 v105, 0xbf1a4643, v47
	v_mul_f32_e32 v164, 0x3e3c28d5, v86
	v_add_f32_e32 v104, v105, v104
	v_mov_b32_e32 v105, v164
	v_fmac_f32_e32 v105, 0xbf7ba420, v49
	v_mul_f32_e32 v165, 0x3f763a35, v88
	v_add_f32_e32 v104, v105, v104
	v_mov_b32_e32 v105, v165
	;; [unrolled: 4-line block ×6, first 2 shown]
	v_fmac_f32_e32 v105, 0xbf59a7d5, v57
	v_mul_f32_e32 v170, 0xbf65296c, v70
	v_add_f32_e32 v105, v105, v104
	v_fma_f32 v104, v42, s16, -v170
	v_mul_f32_e32 v171, 0xbf4c4adb, v73
	v_add_f32_e32 v104, v104, v0
	v_fma_f32 v172, v43, s19, -v171
	v_add_f32_e32 v104, v172, v104
	v_mul_f32_e32 v172, 0x3e3c28d5, v76
	v_fma_f32 v173, v44, s21, -v172
	v_add_f32_e32 v104, v173, v104
	v_mul_f32_e32 v173, 0x3f763a35, v78
	;; [unrolled: 3-line block ×6, first 2 shown]
	v_fma_f32 v178, v54, s20, -v177
	v_mul_f32_e32 v80, 0xbf2c7751, v80
	v_add_f32_e32 v104, v178, v104
	v_mov_b32_e32 v178, v80
	v_mul_f32_e32 v83, 0xbf7ee86f, v83
	v_add_f32_e32 v2, v2, v0
	v_fmac_f32_e32 v178, 0x3f3d2fb0, v45
	v_mov_b32_e32 v179, v83
	v_add_f32_e32 v3, v3, v1
	v_add_f32_e32 v2, v8, v2
	v_add_f32_e32 v178, v178, v1
	v_fmac_f32_e32 v179, 0x3dbcf732, v47
	v_mul_f32_e32 v86, 0xbf4c4adb, v86
	v_add_f32_e32 v3, v9, v3
	v_add_f32_e32 v2, v10, v2
	;; [unrolled: 1-line block ×3, first 2 shown]
	v_mov_b32_e32 v179, v86
	v_add_f32_e32 v3, v11, v3
	v_add_f32_e32 v2, v12, v2
	v_fmac_f32_e32 v179, 0xbf1a4643, v49
	v_add_f32_e32 v3, v13, v3
	v_add_f32_e32 v2, v14, v2
	;; [unrolled: 1-line block ×3, first 2 shown]
	v_mul_f32_e32 v179, 0xbe3c28d5, v88
	v_add_f32_e32 v3, v15, v3
	v_add_f32_e32 v2, v16, v2
	v_mov_b32_e32 v88, v179
	v_add_f32_e32 v3, v17, v3
	v_add_f32_e32 v2, v18, v2
	v_fmac_f32_e32 v88, 0xbf7ba420, v51
	v_mul_f32_e32 v90, 0x3f06c442, v90
	v_add_f32_e32 v3, v19, v3
	v_add_f32_e32 v2, v20, v2
	v_add_f32_e32 v88, v88, v178
	v_mov_b32_e32 v178, v90
	v_add_f32_e32 v3, v21, v3
	v_add_f32_e32 v2, v22, v2
	v_fmac_f32_e32 v178, 0xbf59a7d5, v53
	v_mul_f32_e32 v91, 0x3f763a35, v91
	v_add_f32_e32 v3, v23, v3
	v_add_f32_e32 v2, v4, v2
	;; [unrolled: 1-line block ×3, first 2 shown]
	v_mov_b32_e32 v178, v91
	v_add_f32_e32 v3, v5, v3
	v_add_f32_e32 v2, v6, v2
	v_fma_f32 v4, v45, s19, -v114
	v_fma_f32 v6, v45, s18, -v130
	;; [unrolled: 1-line block ×4, first 2 shown]
	v_fmac_f32_e32 v178, 0xbe8c1d8e, v55
	v_mul_f32_e32 v92, 0x3f65296c, v92
	v_add_f32_e32 v3, v7, v3
	v_add_f32_e32 v4, v4, v1
	v_fma_f32 v5, v47, s18, -v115
	v_add_f32_e32 v6, v6, v1
	v_fma_f32 v7, v47, s20, -v131
	v_add_f32_e32 v8, v8, v1
	v_fma_f32 v9, v47, s21, -v147
	v_add_f32_e32 v10, v10, v1
	v_fma_f32 v11, v47, s19, -v163
	v_add_f32_e32 v88, v178, v88
	v_mov_b32_e32 v178, v92
	v_add_f32_e32 v4, v5, v4
	v_fma_f32 v5, v49, s12, -v116
	v_add_f32_e32 v6, v7, v6
	v_fma_f32 v7, v49, s13, -v132
	;; [unrolled: 2-line block ×4, first 2 shown]
	v_fmac_f32_e32 v178, 0x3ee437d1, v56
	v_mul_f32_e32 v93, 0x3eb8f4ab, v93
	v_add_f32_e32 v4, v5, v4
	v_fma_f32 v5, v51, s20, -v117
	v_add_f32_e32 v6, v7, v6
	v_fma_f32 v7, v51, s16, -v133
	;; [unrolled: 2-line block ×4, first 2 shown]
	v_mul_f32_e32 v106, 0x3f6eb680, v45
	v_add_f32_e32 v88, v178, v88
	v_mov_b32_e32 v178, v93
	v_add_f32_e32 v4, v5, v4
	v_fma_f32 v5, v53, s17, -v118
	v_add_f32_e32 v6, v7, v6
	v_fma_f32 v7, v53, s21, -v134
	;; [unrolled: 2-line block ×4, first 2 shown]
	v_mul_f32_e32 v66, 0x3f6eb680, v42
	v_fmac_f32_e32 v178, 0x3f6eb680, v57
	v_mul_f32_e32 v70, 0xbf2c7751, v70
	v_add_f32_e32 v60, v60, v106
	v_add_f32_e32 v4, v5, v4
	v_fma_f32 v5, v55, s13, -v119
	v_add_f32_e32 v6, v7, v6
	v_fma_f32 v7, v55, s17, -v135
	;; [unrolled: 2-line block ×4, first 2 shown]
	v_fma_f32 v12, v45, s13, -v80
	v_mul_f32_e32 v67, 0x3f3d2fb0, v43
	v_mul_f32_e32 v107, 0x3f3d2fb0, v47
	v_add_f32_e32 v88, v178, v88
	v_fma_f32 v178, v42, s13, -v70
	v_mul_f32_e32 v73, 0xbf7ee86f, v73
	v_add_f32_e32 v60, v60, v1
	v_sub_f32_e32 v58, v66, v58
	v_add_f32_e32 v4, v5, v4
	v_fma_f32 v5, v56, s21, -v120
	v_add_f32_e32 v6, v7, v6
	v_fma_f32 v7, v56, s12, -v136
	;; [unrolled: 2-line block ×5, first 2 shown]
	v_mul_f32_e32 v94, 0x3ee437d1, v44
	v_mul_f32_e32 v108, 0x3ee437d1, v49
	v_add_f32_e32 v178, v178, v0
	v_fma_f32 v180, v43, s17, -v73
	v_mul_f32_e32 v76, 0xbf4c4adb, v76
	v_add_f32_e32 v62, v62, v107
	v_add_f32_e32 v58, v58, v0
	v_sub_f32_e32 v59, v67, v59
	v_add_f32_e32 v4, v5, v4
	v_fma_f32 v5, v57, s16, -v121
	v_fmac_f32_e32 v122, 0xbf1a4643, v42
	v_add_f32_e32 v6, v7, v6
	v_fma_f32 v7, v57, s19, -v137
	v_fmac_f32_e32 v138, 0xbe8c1d8e, v42
	;; [unrolled: 3-line block ×5, first 2 shown]
	v_mul_f32_e32 v95, 0x3dbcf732, v46
	v_mul_f32_e32 v109, 0x3dbcf732, v51
	v_add_f32_e32 v178, v180, v178
	v_fma_f32 v180, v44, s19, -v76
	v_mul_f32_e32 v78, 0xbe3c28d5, v78
	v_add_f32_e32 v60, v62, v60
	v_add_f32_e32 v62, v68, v108
	v_add_f32_e32 v58, v59, v58
	v_sub_f32_e32 v59, v94, v61
	v_add_f32_e32 v5, v5, v4
	v_add_f32_e32 v4, v122, v0
	v_fmac_f32_e32 v123, 0xbe8c1d8e, v43
	v_add_f32_e32 v7, v7, v6
	v_add_f32_e32 v6, v138, v0
	v_fmac_f32_e32 v139, 0xbf59a7d5, v43
	;; [unrolled: 3-line block ×4, first 2 shown]
	v_add_f32_e32 v1, v12, v1
	v_fma_f32 v12, v51, s21, -v179
	v_add_f32_e32 v0, v70, v0
	v_fmac_f32_e32 v73, 0x3dbcf732, v43
	v_mul_f32_e32 v96, 0xbe8c1d8e, v48
	v_mul_f32_e32 v110, 0xbe8c1d8e, v53
	v_add_f32_e32 v178, v180, v178
	v_fma_f32 v180, v46, s21, -v78
	v_mul_f32_e32 v81, 0x3f06c442, v81
	v_add_f32_e32 v60, v62, v60
	v_add_f32_e32 v62, v71, v109
	;; [unrolled: 1-line block ×3, first 2 shown]
	v_sub_f32_e32 v59, v95, v63
	v_add_f32_e32 v4, v123, v4
	v_fmac_f32_e32 v124, 0x3f6eb680, v44
	v_add_f32_e32 v6, v139, v6
	v_fmac_f32_e32 v140, 0x3f3d2fb0, v44
	v_add_f32_e32 v8, v155, v8
	v_fmac_f32_e32 v156, 0xbe8c1d8e, v44
	v_add_f32_e32 v10, v171, v10
	v_fmac_f32_e32 v172, 0xbf7ba420, v44
	v_add_f32_e32 v1, v12, v1
	v_fma_f32 v12, v53, s20, -v90
	v_add_f32_e32 v0, v73, v0
	v_fmac_f32_e32 v76, 0xbf1a4643, v44
	v_mul_f32_e32 v97, 0xbf1a4643, v50
	v_mul_f32_e32 v111, 0xbf1a4643, v55
	v_add_f32_e32 v178, v180, v178
	v_fma_f32 v180, v48, s20, -v81
	v_mul_f32_e32 v84, 0x3f763a35, v84
	v_add_f32_e32 v60, v62, v60
	v_add_f32_e32 v62, v74, v110
	v_add_f32_e32 v58, v59, v58
	v_sub_f32_e32 v59, v96, v69
	v_add_f32_e32 v3, v25, v3
	v_add_f32_e32 v2, v24, v2
	;; [unrolled: 1-line block ×3, first 2 shown]
	v_fmac_f32_e32 v125, 0xbf59a7d5, v46
	v_add_f32_e32 v6, v140, v6
	v_fmac_f32_e32 v141, 0x3ee437d1, v46
	v_add_f32_e32 v8, v156, v8
	;; [unrolled: 2-line block ×4, first 2 shown]
	v_fma_f32 v12, v55, s18, -v91
	v_add_f32_e32 v0, v76, v0
	v_fmac_f32_e32 v78, 0xbf7ba420, v46
	v_mul_f32_e32 v98, 0xbf59a7d5, v52
	v_mul_f32_e32 v112, 0xbf59a7d5, v56
	v_add_f32_e32 v178, v180, v178
	v_fma_f32 v180, v50, s18, -v84
	v_add_f32_e32 v60, v62, v60
	v_add_f32_e32 v62, v77, v111
	;; [unrolled: 1-line block ×3, first 2 shown]
	v_sub_f32_e32 v59, v97, v72
	v_add_f32_e32 v3, v27, v3
	v_add_f32_e32 v2, v26, v2
	;; [unrolled: 1-line block ×3, first 2 shown]
	v_fmac_f32_e32 v126, 0x3dbcf732, v48
	v_add_f32_e32 v6, v141, v6
	v_fmac_f32_e32 v142, 0xbf7ba420, v48
	v_add_f32_e32 v8, v157, v8
	;; [unrolled: 2-line block ×4, first 2 shown]
	v_fma_f32 v12, v56, s16, -v92
	v_add_f32_e32 v0, v78, v0
	v_fmac_f32_e32 v81, 0xbf59a7d5, v48
	v_mul_f32_e32 v99, 0xbf7ba420, v54
	v_mul_f32_e32 v113, 0xbf7ba420, v57
	v_add_f32_e32 v178, v180, v178
	v_mul_f32_e32 v180, 0x3f65296c, v87
	v_add_f32_e32 v60, v62, v60
	v_add_f32_e32 v62, v82, v112
	;; [unrolled: 1-line block ×3, first 2 shown]
	v_sub_f32_e32 v59, v98, v75
	v_add_f32_e32 v3, v29, v3
	v_add_f32_e32 v2, v28, v2
	;; [unrolled: 1-line block ×3, first 2 shown]
	v_fmac_f32_e32 v127, 0x3f3d2fb0, v50
	v_add_f32_e32 v6, v142, v6
	v_fmac_f32_e32 v143, 0x3dbcf732, v50
	v_add_f32_e32 v8, v158, v8
	;; [unrolled: 2-line block ×4, first 2 shown]
	v_fma_f32 v12, v57, s12, -v93
	v_add_f32_e32 v0, v81, v0
	v_fmac_f32_e32 v84, 0xbe8c1d8e, v50
	v_fma_f32 v87, v52, s16, -v180
	v_mul_f32_e32 v89, 0x3eb8f4ab, v89
	v_add_f32_e32 v60, v62, v60
	v_add_f32_e32 v62, v85, v113
	;; [unrolled: 1-line block ×3, first 2 shown]
	v_sub_f32_e32 v59, v99, v79
	v_add_f32_e32 v3, v31, v3
	v_add_f32_e32 v2, v30, v2
	;; [unrolled: 1-line block ×3, first 2 shown]
	v_fmac_f32_e32 v128, 0xbf7ba420, v52
	v_add_f32_e32 v6, v143, v6
	v_fmac_f32_e32 v144, 0x3f6eb680, v52
	v_add_f32_e32 v8, v159, v8
	;; [unrolled: 2-line block ×4, first 2 shown]
	v_add_f32_e32 v0, v84, v0
	v_fmac_f32_e32 v180, 0x3ee437d1, v52
	v_mul_u32_u24_e32 v12, 17, v210
	v_add_f32_e32 v87, v87, v178
	v_fma_f32 v178, v54, s12, -v89
	v_add_f32_e32 v60, v62, v60
	v_add_f32_e32 v59, v59, v58
	;; [unrolled: 1-line block ×5, first 2 shown]
	v_fmac_f32_e32 v129, 0x3ee437d1, v54
	v_add_f32_e32 v6, v144, v6
	v_fmac_f32_e32 v145, 0xbf1a4643, v54
	v_add_f32_e32 v8, v160, v8
	;; [unrolled: 2-line block ×4, first 2 shown]
	v_fmac_f32_e32 v89, 0x3f6eb680, v54
	v_lshlrev_b32_e32 v12, 3, v12
	v_add_f32_e32 v87, v178, v87
	v_add_f32_e32 v4, v129, v4
	;; [unrolled: 1-line block ×6, first 2 shown]
	ds_write2_b64 v12, v[2:3], v[59:60] offset1:1
	ds_write2_b64 v12, v[87:88], v[104:105] offset0:2 offset1:3
	ds_write2_b64 v12, v[102:103], v[100:101] offset0:4 offset1:5
	;; [unrolled: 1-line block ×7, first 2 shown]
	ds_write_b64 v12, v[218:219] offset:128
.LBB0_7:
	s_or_b64 exec, exec, s[4:5]
	s_movk_i32 s16, 0x99
	v_add_co_u32_e32 v117, vcc, s16, v215
	s_movk_i32 s16, 0xcc
	v_add_co_u32_e32 v115, vcc, s16, v215
	;; [unrolled: 2-line block ×8, first 2 shown]
	s_movk_i32 s16, 0xf1
	v_mul_lo_u16_sdwa v0, v215, s16 dst_sel:DWORD dst_unused:UNUSED_PAD src0_sel:BYTE_0 src1_sel:DWORD
	v_lshrrev_b16_e32 v74, 12, v0
	v_mul_lo_u16_e32 v0, 17, v74
	v_sub_u16_e32 v75, v215, v0
	v_lshlrev_b16_e32 v0, 1, v75
	v_and_b32_e32 v0, 0xfe, v0
	v_add_u32_e32 v171, 0xc00, v237
	v_add_u32_e32 v170, 0x2000, v237
	;; [unrolled: 1-line block ×6, first 2 shown]
	v_lshlrev_b32_e32 v0, 3, v0
	s_waitcnt lgkmcnt(0)
	; wave barrier
	s_waitcnt lgkmcnt(0)
	ds_read2_b64 v[60:63], v237 offset1:51
	ds_read2_b64 v[44:47], v171 offset0:126 offset1:177
	ds_read2_b64 v[6:9], v170 offset0:98 offset1:149
	;; [unrolled: 1-line block ×11, first 2 shown]
	global_load_dwordx4 v[0:3], v0, s[2:3]
	v_add_u32_e32 v5, 0x2c00, v237
	v_add_u32_e32 v172, 0x1c00, v237
	ds_read2_b64 v[34:37], v167 offset0:150 offset1:201
	ds_read2_b64 v[48:51], v168 offset0:152 offset1:203
	;; [unrolled: 1-line block ×4, first 2 shown]
	ds_read_b64 v[72:73], v237 offset:13056
	v_add_co_u32_e32 v118, vcc, 0x66, v215
	v_mad_legacy_u16 v74, v74, 51, v75
	v_mov_b32_e32 v75, 3
	v_lshlrev_b32_sdwa v225, v75, v74 dst_sel:DWORD dst_unused:UNUSED_PAD src0_sel:DWORD src1_sel:BYTE_0
	s_movk_i32 s17, 0xa1
	s_mov_b32 s20, 0xbf75a155
	s_movk_i32 s13, 0x1000
	s_add_u32 s4, s6, 0x3498
	s_addc_u32 s5, s7, 0
	s_movk_i32 s12, 0x2000
	s_waitcnt vmcnt(0) lgkmcnt(14)
	v_mul_f32_e32 v4, v47, v1
	v_fma_f32 v88, v46, v0, -v4
	v_mul_f32_e32 v89, v46, v1
	v_mul_f32_e32 v4, v7, v3
	v_fmac_f32_e32 v89, v47, v0
	v_fma_f32 v90, v6, v2, -v4
	v_mul_f32_e32 v92, v6, v3
	buffer_store_dword v0, off, s[24:27], 0 offset:72 ; 4-byte Folded Spill
	s_nop 0
	buffer_store_dword v1, off, s[24:27], 0 offset:76 ; 4-byte Folded Spill
	buffer_store_dword v2, off, s[24:27], 0 offset:80 ; 4-byte Folded Spill
	buffer_store_dword v3, off, s[24:27], 0 offset:84 ; 4-byte Folded Spill
	v_mul_lo_u16_sdwa v4, v210, s16 dst_sel:DWORD dst_unused:UNUSED_PAD src0_sel:BYTE_0 src1_sel:DWORD
	v_lshrrev_b16_e32 v46, 12, v4
	v_mul_lo_u16_e32 v4, 17, v46
	v_sub_u16_e32 v4, v210, v4
	v_and_b32_e32 v47, 0xff, v4
	v_lshlrev_b32_e32 v4, 4, v47
	v_mul_u32_u24_e32 v46, 51, v46
	v_add_lshl_u32 v232, v46, v47, 3
	v_fmac_f32_e32 v92, v7, v2
	global_load_dwordx4 v[0:3], v4, s[2:3]
	s_waitcnt vmcnt(0) lgkmcnt(13)
	v_mul_f32_e32 v42, v11, v1
	v_fma_f32 v94, v10, v0, -v42
	v_mul_f32_e32 v95, v10, v1
	v_mul_f32_e32 v10, v9, v3
	v_fmac_f32_e32 v95, v11, v0
	v_fma_f32 v96, v8, v2, -v10
	v_mul_f32_e32 v97, v8, v3
	buffer_store_dword v0, off, s[24:27], 0 offset:88 ; 4-byte Folded Spill
	s_nop 0
	buffer_store_dword v1, off, s[24:27], 0 offset:92 ; 4-byte Folded Spill
	buffer_store_dword v2, off, s[24:27], 0 offset:96 ; 4-byte Folded Spill
	;; [unrolled: 1-line block ×3, first 2 shown]
	v_mul_lo_u16_sdwa v8, v118, s16 dst_sel:DWORD dst_unused:UNUSED_PAD src0_sel:BYTE_0 src1_sel:DWORD
	v_lshrrev_b16_e32 v76, 12, v8
	v_mul_lo_u16_e32 v8, 17, v76
	v_sub_u16_e32 v8, v118, v8
	v_and_b32_e32 v77, 0xff, v8
	v_lshlrev_b32_e32 v8, 4, v77
	v_mul_u32_u24_e32 v46, 51, v76
	v_add_lshl_u32 v238, v46, v77, 3
	v_fmac_f32_e32 v97, v9, v2
	global_load_dwordx4 v[0:3], v8, s[2:3]
	s_waitcnt vmcnt(0)
	v_mul_f32_e32 v42, v13, v1
	v_fma_f32 v98, v12, v0, -v42
	v_mul_f32_e32 v99, v12, v1
	s_waitcnt lgkmcnt(11)
	v_mul_f32_e32 v12, v15, v3
	v_fmac_f32_e32 v99, v13, v0
	v_fma_f32 v100, v14, v2, -v12
	v_mul_f32_e32 v101, v14, v3
	buffer_store_dword v0, off, s[24:27], 0 offset:104 ; 4-byte Folded Spill
	s_nop 0
	buffer_store_dword v1, off, s[24:27], 0 offset:108 ; 4-byte Folded Spill
	buffer_store_dword v2, off, s[24:27], 0 offset:112 ; 4-byte Folded Spill
	;; [unrolled: 1-line block ×3, first 2 shown]
	v_mul_lo_u16_sdwa v12, v117, s16 dst_sel:DWORD dst_unused:UNUSED_PAD src0_sel:BYTE_0 src1_sel:DWORD
	v_lshrrev_b16_e32 v78, 12, v12
	v_mul_lo_u16_e32 v12, 17, v78
	v_sub_u16_e32 v12, v117, v12
	v_and_b32_e32 v79, 0xff, v12
	v_lshlrev_b32_e32 v12, 4, v79
	v_mul_u32_u24_e32 v46, 51, v78
	v_add_lshl_u32 v252, v46, v79, 3
	v_mov_b32_e32 v79, s3
	v_mov_b32_e32 v78, s2
	v_fmac_f32_e32 v101, v15, v2
	global_load_dwordx4 v[0:3], v12, s[2:3]
	s_waitcnt vmcnt(0) lgkmcnt(10)
	v_mul_f32_e32 v42, v19, v1
	v_fma_f32 v102, v18, v0, -v42
	v_mul_f32_e32 v103, v18, v1
	v_mul_f32_e32 v18, v17, v3
	v_fmac_f32_e32 v103, v19, v0
	v_fma_f32 v104, v16, v2, -v18
	v_mul_f32_e32 v105, v16, v3
	buffer_store_dword v0, off, s[24:27], 0 offset:120 ; 4-byte Folded Spill
	s_nop 0
	buffer_store_dword v1, off, s[24:27], 0 offset:124 ; 4-byte Folded Spill
	buffer_store_dword v2, off, s[24:27], 0 offset:128 ; 4-byte Folded Spill
	;; [unrolled: 1-line block ×3, first 2 shown]
	v_mul_lo_u16_sdwa v16, v115, s16 dst_sel:DWORD dst_unused:UNUSED_PAD src0_sel:BYTE_0 src1_sel:DWORD
	v_lshrrev_b16_e32 v80, 12, v16
	v_mul_lo_u16_e32 v16, 17, v80
	v_sub_u16_e32 v16, v115, v16
	v_and_b32_e32 v81, 0xff, v16
	v_lshlrev_b32_e32 v16, 4, v81
	s_mov_b32 s16, 0xf0f1
	v_mul_u32_u24_e32 v46, 51, v80
	v_fmac_f32_e32 v105, v17, v2
	global_load_dwordx4 v[0:3], v16, s[2:3]
	s_waitcnt vmcnt(0)
	v_mul_f32_e32 v42, v21, v1
	v_fma_f32 v106, v20, v0, -v42
	v_mul_f32_e32 v107, v20, v1
	s_waitcnt lgkmcnt(8)
	v_mul_f32_e32 v20, v23, v3
	v_fmac_f32_e32 v107, v21, v0
	v_fma_f32 v108, v22, v2, -v20
	v_mul_f32_e32 v109, v22, v3
	buffer_store_dword v0, off, s[24:27], 0 offset:136 ; 4-byte Folded Spill
	s_nop 0
	buffer_store_dword v1, off, s[24:27], 0 offset:140 ; 4-byte Folded Spill
	buffer_store_dword v2, off, s[24:27], 0 offset:144 ; 4-byte Folded Spill
	;; [unrolled: 1-line block ×3, first 2 shown]
	v_mul_u32_u24_sdwa v20, v114, s16 dst_sel:DWORD dst_unused:UNUSED_PAD src0_sel:WORD_0 src1_sel:DWORD
	v_lshrrev_b32_e32 v82, 20, v20
	v_mul_lo_u16_e32 v20, 17, v82
	v_sub_u16_e32 v83, v114, v20
	v_lshlrev_b16_e32 v20, 1, v83
	v_lshlrev_b32_e32 v20, 3, v20
	v_add_lshl_u32 v0, v46, v81, 3
	v_mad_legacy_u16 v46, v82, 51, v83
	v_fmac_f32_e32 v109, v23, v2
	global_load_dwordx4 v[20:23], v20, s[2:3]
	s_waitcnt vmcnt(0) lgkmcnt(7)
	v_mul_f32_e32 v42, v27, v21
	v_fma_f32 v110, v26, v20, -v42
	v_mul_f32_e32 v111, v26, v21
	v_mul_f32_e32 v26, v25, v23
	v_fma_f32 v119, v24, v22, -v26
	v_mul_f32_e32 v121, v24, v23
	v_mul_u32_u24_sdwa v24, v113, s16 dst_sel:DWORD dst_unused:UNUSED_PAD src0_sel:WORD_0 src1_sel:DWORD
	v_lshrrev_b32_e32 v84, 20, v24
	v_mul_lo_u16_e32 v24, 17, v84
	v_sub_u16_e32 v85, v113, v24
	v_lshlrev_b16_e32 v24, 1, v85
	v_lshlrev_b32_e32 v24, 3, v24
	v_fmac_f32_e32 v111, v27, v20
	v_fmac_f32_e32 v121, v25, v22
	global_load_dwordx4 v[24:27], v24, s[2:3]
	s_waitcnt vmcnt(0)
	v_mul_f32_e32 v42, v29, v25
	v_fma_f32 v122, v28, v24, -v42
	v_mul_f32_e32 v123, v28, v25
	s_waitcnt lgkmcnt(5)
	v_mul_f32_e32 v28, v31, v27
	v_fma_f32 v125, v30, v26, -v28
	v_mul_u32_u24_sdwa v28, v112, s16 dst_sel:DWORD dst_unused:UNUSED_PAD src0_sel:WORD_0 src1_sel:DWORD
	v_lshrrev_b32_e32 v86, 20, v28
	v_mul_lo_u16_e32 v28, 17, v86
	v_sub_u16_e32 v87, v112, v28
	v_lshlrev_b16_e32 v28, 1, v87
	v_mul_f32_e32 v126, v30, v27
	v_lshlrev_b32_e32 v28, 3, v28
	v_fmac_f32_e32 v123, v29, v24
	v_fmac_f32_e32 v126, v31, v26
	global_load_dwordx4 v[28:31], v28, s[2:3]
	v_lshlrev_b32_e32 v112, 4, v112
	s_waitcnt vmcnt(0) lgkmcnt(4)
	v_mul_f32_e32 v42, v35, v29
	v_fma_f32 v128, v34, v28, -v42
	v_mul_f32_e32 v129, v34, v29
	v_mul_f32_e32 v34, v33, v31
	v_fma_f32 v130, v32, v30, -v34
	v_mul_f32_e32 v131, v32, v31
	v_mul_u32_u24_sdwa v32, v116, s16 dst_sel:DWORD dst_unused:UNUSED_PAD src0_sel:WORD_0 src1_sel:DWORD
	v_lshrrev_b32_e32 v91, 20, v32
	v_mul_lo_u16_e32 v32, 17, v91
	v_sub_u16_e32 v93, v116, v32
	v_lshlrev_b16_e32 v32, 1, v93
	v_lshlrev_b32_e32 v32, 3, v32
	v_fmac_f32_e32 v129, v35, v28
	v_fmac_f32_e32 v131, v33, v30
	global_load_dwordx4 v[32:35], v32, s[2:3]
	v_lshlrev_b32_e32 v116, 4, v116
	s_waitcnt vmcnt(0)
	v_mul_f32_e32 v42, v37, v33
	v_fma_f32 v132, v36, v32, -v42
	v_mul_f32_e32 v133, v36, v33
	s_waitcnt lgkmcnt(2)
	v_mul_f32_e32 v36, v39, v35
	v_fma_f32 v134, v38, v34, -v36
	v_mul_u32_u24_sdwa v36, v120, s16 dst_sel:DWORD dst_unused:UNUSED_PAD src0_sel:WORD_0 src1_sel:DWORD
	v_lshrrev_b32_e32 v141, 20, v36
	v_mul_lo_u16_e32 v36, 17, v141
	v_sub_u16_e32 v142, v120, v36
	v_lshlrev_b16_e32 v36, 1, v142
	v_mul_f32_e32 v135, v38, v35
	v_lshlrev_b32_e32 v36, 3, v36
	v_fmac_f32_e32 v133, v37, v32
	v_fmac_f32_e32 v135, v39, v34
	global_load_dwordx4 v[36:39], v36, s[2:3]
	v_lshlrev_b32_e32 v120, 4, v120
	s_waitcnt vmcnt(0) lgkmcnt(1)
	v_mul_f32_e32 v42, v69, v37
	v_fma_f32 v136, v68, v36, -v42
	v_mul_f32_e32 v42, v41, v39
	v_fma_f32 v138, v40, v38, -v42
	v_mul_f32_e32 v139, v40, v39
	v_mul_u32_u24_sdwa v40, v124, s16 dst_sel:DWORD dst_unused:UNUSED_PAD src0_sel:WORD_0 src1_sel:DWORD
	v_lshrrev_b32_e32 v143, 20, v40
	v_mul_lo_u16_e32 v40, 17, v143
	v_sub_u16_e32 v144, v124, v40
	v_lshlrev_b16_e32 v40, 1, v144
	v_lshlrev_b32_e32 v40, 3, v40
	v_fmac_f32_e32 v139, v41, v38
	global_load_dwordx4 v[40:43], v40, s[2:3]
	v_mul_f32_e32 v137, v68, v37
	v_fmac_f32_e32 v137, v69, v36
	v_add_f32_e32 v69, v88, v90
	s_waitcnt lgkmcnt(0)
	; wave barrier
	s_waitcnt lgkmcnt(0)
	s_movk_i32 s16, 0x50
	v_lshlrev_b32_e32 v124, 4, v124
	s_waitcnt vmcnt(0)
	v_mul_f32_e32 v68, v71, v41
	v_fma_f32 v140, v70, v40, -v68
	v_mul_f32_e32 v68, v73, v43
	v_mul_f32_e32 v145, v70, v41
	v_fma_f32 v146, v72, v42, -v68
	v_add_f32_e32 v68, v60, v88
	v_fma_f32 v60, -0.5, v69, v60
	v_fmac_f32_e32 v145, v71, v40
	v_sub_f32_e32 v69, v89, v92
	v_mov_b32_e32 v70, v60
	v_add_f32_e32 v71, v89, v92
	v_mul_f32_e32 v147, v72, v43
	v_fmac_f32_e32 v70, 0x3f5db3d7, v69
	v_fmac_f32_e32 v60, 0xbf5db3d7, v69
	v_add_f32_e32 v69, v61, v89
	v_fma_f32 v61, -0.5, v71, v61
	v_fmac_f32_e32 v147, v73, v42
	v_sub_f32_e32 v72, v88, v90
	v_mov_b32_e32 v71, v61
	v_add_f32_e32 v73, v94, v96
	v_fmac_f32_e32 v71, 0xbf5db3d7, v72
	v_fmac_f32_e32 v61, 0x3f5db3d7, v72
	v_add_f32_e32 v72, v62, v94
	v_fma_f32 v62, -0.5, v73, v62
	v_sub_f32_e32 v73, v95, v97
	v_mov_b32_e32 v88, v62
	v_add_f32_e32 v89, v95, v97
	v_fmac_f32_e32 v88, 0x3f5db3d7, v73
	v_fmac_f32_e32 v62, 0xbf5db3d7, v73
	v_add_f32_e32 v73, v63, v95
	v_fmac_f32_e32 v63, -0.5, v89
	v_add_f32_e32 v68, v68, v90
	v_sub_f32_e32 v90, v94, v96
	v_mov_b32_e32 v89, v63
	v_fmac_f32_e32 v89, 0xbf5db3d7, v90
	v_fmac_f32_e32 v63, 0x3f5db3d7, v90
	v_add_f32_e32 v90, v64, v98
	v_add_f32_e32 v94, v90, v100
	v_add_f32_e32 v90, v98, v100
	v_fma_f32 v64, -0.5, v90, v64
	v_add_f32_e32 v72, v72, v96
	v_sub_f32_e32 v90, v99, v101
	v_mov_b32_e32 v96, v64
	v_fmac_f32_e32 v96, 0x3f5db3d7, v90
	v_fmac_f32_e32 v64, 0xbf5db3d7, v90
	v_add_f32_e32 v90, v65, v99
	v_add_f32_e32 v95, v90, v101
	v_add_f32_e32 v90, v99, v101
	v_fma_f32 v65, -0.5, v90, v65
	;; [unrolled: 9-line block ×3, first 2 shown]
	v_sub_f32_e32 v90, v103, v105
	v_mov_b32_e32 v100, v66
	v_fmac_f32_e32 v100, 0x3f5db3d7, v90
	v_fmac_f32_e32 v66, 0xbf5db3d7, v90
	v_add_f32_e32 v90, v67, v103
	v_add_f32_e32 v99, v90, v105
	v_add_f32_e32 v90, v103, v105
	v_fmac_f32_e32 v67, -0.5, v90
	v_sub_f32_e32 v90, v102, v104
	v_mov_b32_e32 v101, v67
	v_fmac_f32_e32 v101, 0xbf5db3d7, v90
	v_fmac_f32_e32 v67, 0x3f5db3d7, v90
	v_add_f32_e32 v90, v56, v106
	v_add_f32_e32 v102, v90, v108
	v_add_f32_e32 v90, v106, v108
	v_fma_f32 v56, -0.5, v90, v56
	v_sub_f32_e32 v90, v107, v109
	v_mov_b32_e32 v104, v56
	v_fmac_f32_e32 v104, 0x3f5db3d7, v90
	v_fmac_f32_e32 v56, 0xbf5db3d7, v90
	v_add_f32_e32 v90, v57, v107
	v_add_f32_e32 v103, v90, v109
	v_add_f32_e32 v90, v107, v109
	v_fma_f32 v57, -0.5, v90, v57
	v_sub_f32_e32 v90, v106, v108
	v_mov_b32_e32 v105, v57
	v_fmac_f32_e32 v105, 0xbf5db3d7, v90
	v_fmac_f32_e32 v57, 0x3f5db3d7, v90
	v_add_f32_e32 v90, v58, v110
	v_add_f32_e32 v106, v90, v119
	v_add_f32_e32 v90, v110, v119
	v_fma_f32 v58, -0.5, v90, v58
	v_sub_f32_e32 v90, v111, v121
	v_mov_b32_e32 v108, v58
	v_fmac_f32_e32 v108, 0x3f5db3d7, v90
	v_fmac_f32_e32 v58, 0xbf5db3d7, v90
	v_add_f32_e32 v90, v59, v111
	v_add_f32_e32 v107, v90, v121
	v_add_f32_e32 v90, v111, v121
	v_fmac_f32_e32 v59, -0.5, v90
	v_sub_f32_e32 v90, v110, v119
	v_mov_b32_e32 v109, v59
	v_fmac_f32_e32 v109, 0xbf5db3d7, v90
	v_fmac_f32_e32 v59, 0x3f5db3d7, v90
	v_add_f32_e32 v90, v52, v122
	v_add_f32_e32 v110, v90, v125
	v_add_f32_e32 v90, v122, v125
	v_fma_f32 v52, -0.5, v90, v52
	v_sub_f32_e32 v90, v123, v126
	v_mov_b32_e32 v121, v52
	v_fmac_f32_e32 v121, 0x3f5db3d7, v90
	v_fmac_f32_e32 v52, 0xbf5db3d7, v90
	v_add_f32_e32 v90, v53, v123
	v_add_f32_e32 v111, v90, v126
	v_add_f32_e32 v90, v123, v126
	v_fma_f32 v53, -0.5, v90, v53
	v_sub_f32_e32 v90, v122, v125
	v_mov_b32_e32 v122, v53
	v_fmac_f32_e32 v122, 0xbf5db3d7, v90
	v_fmac_f32_e32 v53, 0x3f5db3d7, v90
	v_add_f32_e32 v90, v54, v128
	v_add_f32_e32 v125, v90, v130
	v_add_f32_e32 v90, v128, v130
	v_fma_f32 v54, -0.5, v90, v54
	;; [unrolled: 32-line block ×3, first 2 shown]
	v_sub_f32_e32 v90, v137, v139
	v_mov_b32_e32 v135, v50
	v_fmac_f32_e32 v135, 0x3f5db3d7, v90
	v_fmac_f32_e32 v50, 0xbf5db3d7, v90
	v_add_f32_e32 v90, v51, v137
	v_add_f32_e32 v134, v90, v139
	;; [unrolled: 1-line block ×3, first 2 shown]
	v_fmac_f32_e32 v51, -0.5, v90
	v_sub_f32_e32 v90, v136, v138
	v_mov_b32_e32 v136, v51
	v_fmac_f32_e32 v136, 0xbf5db3d7, v90
	v_fmac_f32_e32 v51, 0x3f5db3d7, v90
	v_add_f32_e32 v90, v44, v140
	v_add_f32_e32 v137, v90, v146
	;; [unrolled: 1-line block ×4, first 2 shown]
	v_fma_f32 v44, -0.5, v90, v44
	v_sub_f32_e32 v90, v145, v147
	v_mov_b32_e32 v139, v44
	ds_write2_b64 v225, v[68:69], v[70:71] offset1:17
	ds_write_b64 v225, v[60:61] offset:272
	ds_write2_b64 v232, v[72:73], v[88:89] offset1:17
	ds_write_b64 v232, v[62:63] offset:272
	;; [unrolled: 2-line block ×4, first 2 shown]
	ds_write2_b64 v0, v[102:103], v[104:105] offset1:17
	buffer_store_dword v0, off, s[24:27], 0 offset:160 ; 4-byte Folded Spill
	ds_write_b64 v0, v[56:57] offset:272
	v_lshlrev_b32_e32 v0, 3, v46
	v_mad_legacy_u16 v46, v84, 51, v85
	v_fmac_f32_e32 v139, 0x3f5db3d7, v90
	v_fmac_f32_e32 v44, 0xbf5db3d7, v90
	v_add_f32_e32 v90, v45, v145
	ds_write2_b64 v0, v[106:107], v[108:109] offset1:17
	buffer_store_dword v0, off, s[24:27], 0 offset:164 ; 4-byte Folded Spill
	ds_write_b64 v0, v[58:59] offset:272
	v_lshlrev_b32_e32 v0, 3, v46
	v_mad_legacy_u16 v46, v86, 51, v87
	v_add_f32_e32 v138, v90, v147
	v_add_f32_e32 v90, v145, v147
	ds_write2_b64 v0, v[110:111], v[121:122] offset1:17
	buffer_store_dword v0, off, s[24:27], 0 offset:168 ; 4-byte Folded Spill
	ds_write_b64 v0, v[52:53] offset:272
	v_lshlrev_b32_e32 v0, 3, v46
	v_mad_legacy_u16 v46, v91, 51, v93
	v_mad_u64_u32 v[60:61], s[18:19], v215, s16, v[78:79]
	v_fmac_f32_e32 v45, -0.5, v90
	ds_write2_b64 v0, v[125:126], v[127:128] offset1:17
	buffer_store_dword v0, off, s[24:27], 0 offset:172 ; 4-byte Folded Spill
	ds_write_b64 v0, v[54:55] offset:272
	v_lshlrev_b32_e32 v0, 3, v46
	v_mad_legacy_u16 v46, v141, 51, v142
	v_sub_f32_e32 v90, v140, v146
	v_mov_b32_e32 v140, v45
	ds_write2_b64 v0, v[129:130], v[131:132] offset1:17
	buffer_store_dword v0, off, s[24:27], 0 offset:176 ; 4-byte Folded Spill
	ds_write_b64 v0, v[48:49] offset:272
	v_lshlrev_b32_e32 v0, 3, v46
	v_mad_legacy_u16 v46, v143, 51, v144
	v_fmac_f32_e32 v140, 0xbf5db3d7, v90
	v_fmac_f32_e32 v45, 0x3f5db3d7, v90
	ds_write2_b64 v0, v[133:134], v[135:136] offset1:17
	buffer_store_dword v0, off, s[24:27], 0 offset:180 ; 4-byte Folded Spill
	ds_write_b64 v0, v[50:51] offset:272
	v_lshlrev_b32_e32 v0, 3, v46
	ds_write2_b64 v0, v[137:138], v[139:140] offset1:17
	buffer_store_dword v0, off, s[24:27], 0 offset:184 ; 4-byte Folded Spill
	ds_write_b64 v0, v[44:45] offset:272
	s_waitcnt lgkmcnt(0)
	; wave barrier
	s_waitcnt lgkmcnt(0)
	ds_read2_b64 v[88:91], v237 offset1:51
	ds_read2_b64 v[84:87], v237 offset0:102 offset1:153
	ds_read2_b64 v[62:65], v168 offset0:50 offset1:101
	ds_read2_b64 v[80:83], v168 offset0:152 offset1:203
	ds_read2_b64 v[66:69], v166 offset0:100 offset1:151
	ds_read2_b64 v[127:130], v166 offset0:202 offset1:253
	ds_read2_b64 v[70:73], v167 offset0:150 offset1:201
	ds_read2_b64 v[136:139], v172 offset0:124 offset1:175
	ds_read2_b64 v[74:77], v170 offset0:200 offset1:251
	ds_read2_b64 v[158:161], v188 offset0:46 offset1:97
	ds_read2_b64 v[142:145], v5 offset0:122 offset1:173
	ds_read2_b64 v[175:178], v237 offset0:204 offset1:255
	ds_read2_b64 v[179:182], v171 offset0:126 offset1:177
	ds_read2_b64 v[183:186], v167 offset0:48 offset1:99
	ds_read2_b64 v[189:192], v170 offset0:98 offset1:149
	ds_read2_b64 v[92:95], v188 offset0:148 offset1:199
	ds_read_b64 v[96:97], v237 offset:13056
	global_load_dwordx4 v[44:47], v[60:61], off offset:320
	global_load_dwordx4 v[48:51], v[60:61], off offset:304
	global_load_dwordx4 v[52:55], v[60:61], off offset:288
	global_load_dwordx4 v[56:59], v[60:61], off offset:272
	s_mov_b32 s18, 0x3f575c64
	s_mov_b32 s19, 0xbf27a4f4
	s_waitcnt vmcnt(3) lgkmcnt(8)
	v_mul_f32_e32 v109, v74, v47
	s_waitcnt vmcnt(2)
	v_mul_f32_e32 v101, v70, v51
	s_waitcnt vmcnt(1)
	;; [unrolled: 2-line block ×3, first 2 shown]
	v_mul_f32_e32 v98, v87, v57
	v_fma_f32 v162, v86, v56, -v98
	v_mul_f32_e32 v163, v86, v57
	v_mul_f32_e32 v86, v63, v59
	v_fma_f32 v110, v62, v58, -v86
	v_mul_f32_e32 v111, v62, v59
	;; [unrolled: 3-line block ×3, first 2 shown]
	v_fma_f32 v102, v66, v54, -v62
	v_mul_f32_e32 v62, v130, v49
	v_fma_f32 v98, v129, v48, -v62
	v_mul_f32_e32 v62, v71, v51
	v_fma_f32 v100, v70, v50, -v62
	v_mul_f32_e32 v62, v139, v45
	v_fma_f32 v104, v138, v44, -v62
	v_mul_f32_e32 v62, v75, v47
	v_fmac_f32_e32 v111, v63, v58
	v_fma_f32 v108, v74, v46, -v62
	global_load_dwordx4 v[60:63], v[60:61], off offset:336
	v_mul_f32_e32 v151, v64, v59
	v_mul_f32_e32 v107, v82, v53
	v_fmac_f32_e32 v107, v83, v52
	v_mul_f32_e32 v141, v68, v55
	v_mul_f32_e32 v135, v72, v51
	v_mul_f32_e32 v149, v76, v47
	v_fmac_f32_e32 v103, v67, v54
	v_fmac_f32_e32 v101, v71, v50
	;; [unrolled: 1-line block ×7, first 2 shown]
	v_mul_f32_e32 v105, v138, v45
	v_mul_f32_e32 v99, v129, v49
	v_fmac_f32_e32 v105, v139, v44
	v_fmac_f32_e32 v99, v130, v48
	;; [unrolled: 1-line block ×3, first 2 shown]
	v_add_f32_e32 v87, v89, v163
	v_add_f32_e32 v87, v87, v111
	;; [unrolled: 1-line block ×8, first 2 shown]
	s_waitcnt lgkmcnt(5)
	v_mul_f32_e32 v155, v175, v57
	s_waitcnt lgkmcnt(4)
	v_mul_f32_e32 v147, v179, v53
	;; [unrolled: 2-line block ×3, first 2 shown]
	v_fmac_f32_e32 v155, v176, v56
	v_fmac_f32_e32 v147, v180, v52
	;; [unrolled: 1-line block ×3, first 2 shown]
	s_waitcnt vmcnt(0)
	v_mul_f32_e32 v66, v161, v61
	v_fma_f32 v164, v160, v60, -v66
	v_mul_f32_e32 v66, v143, v63
	v_fma_f32 v173, v142, v62, -v66
	;; [unrolled: 2-line block ×8, first 2 shown]
	s_waitcnt lgkmcnt(2)
	v_mul_f32_e32 v64, v190, v45
	v_mul_f32_e32 v174, v142, v63
	v_fma_f32 v142, v189, v44, -v64
	v_mul_f32_e32 v64, v77, v47
	v_fma_f32 v148, v76, v46, -v64
	s_waitcnt lgkmcnt(1)
	v_mul_f32_e32 v64, v93, v61
	v_fma_f32 v152, v92, v60, -v64
	v_mul_f32_e32 v64, v145, v63
	v_fma_f32 v156, v144, v62, -v64
	v_mul_lo_u16_sdwa v64, v118, s17 dst_sel:DWORD dst_unused:UNUSED_PAD src0_sel:BYTE_0 src1_sel:DWORD
	v_lshrrev_b16_e32 v64, 13, v64
	v_mul_lo_u16_e32 v64, 51, v64
	v_sub_u16_e32 v64, v118, v64
	v_and_b32_e32 v119, 0xff, v64
	v_mad_u64_u32 v[82:83], s[16:17], v119, s16, v[78:79]
	global_load_dwordx4 v[64:67], v[82:83], off offset:320
	global_load_dwordx4 v[68:71], v[82:83], off offset:304
	;; [unrolled: 1-line block ×4, first 2 shown]
	v_mul_f32_e32 v157, v144, v63
	v_mul_f32_e32 v165, v160, v61
	v_fmac_f32_e32 v174, v143, v62
	v_fmac_f32_e32 v165, v161, v60
	v_mul_f32_e32 v153, v92, v61
	v_fmac_f32_e32 v157, v145, v62
	v_add_f32_e32 v87, v87, v165
	v_add_f32_e32 v92, v162, v173
	s_mov_b32 s16, 0x3ed4b147
	s_mov_b32 s17, 0xbe11bafb
	v_fmac_f32_e32 v153, v93, v60
	v_add_f32_e32 v87, v87, v174
	v_add_f32_e32 v93, v163, v174
	v_mul_f32_e32 v143, v189, v45
	v_fmac_f32_e32 v143, v190, v44
	v_lshlrev_b32_e32 v0, 3, v119
	s_waitcnt vmcnt(3)
	v_mul_f32_e32 v129, v191, v65
	s_waitcnt vmcnt(2)
	v_mul_f32_e32 v125, v136, v71
	v_fmac_f32_e32 v125, v137, v70
	s_waitcnt vmcnt(0)
	v_mul_f32_e32 v86, v178, v77
	v_fma_f32 v144, v177, v76, -v86
	v_mul_f32_e32 v86, v81, v79
	v_fma_f32 v138, v80, v78, -v86
	v_mul_f32_e32 v139, v80, v79
	v_mul_f32_e32 v80, v182, v73
	v_fma_f32 v130, v181, v72, -v80
	v_mul_f32_e32 v80, v128, v75
	v_fma_f32 v126, v127, v74, -v80
	v_mul_f32_e32 v80, v186, v69
	v_fma_f32 v121, v185, v68, -v80
	v_mul_f32_e32 v80, v137, v71
	v_mul_f32_e32 v127, v127, v75
	v_fma_f32 v123, v136, v70, -v80
	v_mul_f32_e32 v80, v192, v65
	v_fmac_f32_e32 v127, v128, v74
	v_fma_f32 v128, v191, v64, -v80
	v_mul_f32_e32 v80, v159, v67
	v_fmac_f32_e32 v139, v81, v78
	v_fma_f32 v136, v158, v66, -v80
	global_load_dwordx4 v[80:83], v[82:83], off offset:336
	v_mul_f32_e32 v137, v158, v67
	v_fmac_f32_e32 v137, v159, v66
	v_mul_f32_e32 v145, v177, v77
	v_mul_f32_e32 v131, v181, v73
	;; [unrolled: 1-line block ×3, first 2 shown]
	v_fmac_f32_e32 v145, v178, v76
	v_fmac_f32_e32 v131, v182, v72
	v_fmac_f32_e32 v122, v186, v68
	v_fmac_f32_e32 v129, v192, v64
	s_waitcnt lgkmcnt(0)
	; wave barrier
	s_waitcnt vmcnt(0) lgkmcnt(0)
	v_mul_f32_e32 v86, v95, v81
	v_fma_f32 v158, v94, v80, -v86
	v_mul_f32_e32 v86, v97, v83
	v_fma_f32 v160, v96, v82, -v86
	v_add_f32_e32 v86, v88, v162
	v_add_f32_e32 v86, v86, v110
	v_add_f32_e32 v86, v86, v106
	v_add_f32_e32 v86, v86, v102
	v_add_f32_e32 v86, v86, v98
	v_add_f32_e32 v86, v86, v100
	v_add_f32_e32 v86, v86, v104
	v_mul_f32_e32 v159, v94, v81
	v_add_f32_e32 v86, v86, v108
	v_fmac_f32_e32 v159, v95, v80
	v_add_f32_e32 v86, v86, v164
	v_sub_f32_e32 v94, v162, v173
	v_sub_f32_e32 v95, v163, v174
	v_mul_f32_e32 v161, v96, v83
	v_add_f32_e32 v86, v86, v173
	v_mul_f32_e32 v96, 0xbf0a6770, v95
	v_mul_f32_e32 v162, 0xbf0a6770, v94
	;; [unrolled: 1-line block ×10, first 2 shown]
	v_fmac_f32_e32 v161, v97, v82
	v_fma_f32 v97, v92, s18, -v96
	v_mov_b32_e32 v163, v162
	v_fmac_f32_e32 v96, 0x3f575c64, v92
	v_fma_f32 v174, v92, s16, -v173
	v_mov_b32_e32 v176, v175
	v_fmac_f32_e32 v173, 0x3ed4b147, v92
	v_fma_f32 v178, v92, s17, -v177
	v_mov_b32_e32 v180, v179
	v_fmac_f32_e32 v177, 0xbe11bafb, v92
	v_fma_f32 v182, v92, s19, -v181
	v_mov_b32_e32 v184, v183
	v_fmac_f32_e32 v181, 0xbf27a4f4, v92
	v_fma_f32 v185, v92, s20, -v95
	v_mov_b32_e32 v186, v94
	v_fmac_f32_e32 v95, 0xbf75a155, v92
	v_add_f32_e32 v97, v88, v97
	v_fmac_f32_e32 v163, 0x3f575c64, v93
	v_add_f32_e32 v96, v88, v96
	v_fma_f32 v162, v93, s18, -v162
	v_add_f32_e32 v174, v88, v174
	v_fmac_f32_e32 v176, 0x3ed4b147, v93
	v_add_f32_e32 v173, v88, v173
	v_fma_f32 v175, v93, s16, -v175
	;; [unrolled: 4-line block ×5, first 2 shown]
	v_sub_f32_e32 v95, v111, v165
	v_add_f32_e32 v163, v89, v163
	v_add_f32_e32 v162, v89, v162
	;; [unrolled: 1-line block ×11, first 2 shown]
	v_sub_f32_e32 v94, v110, v164
	v_mul_f32_e32 v110, 0xbf68dda4, v95
	v_add_f32_e32 v93, v111, v165
	v_fma_f32 v111, v92, s16, -v110
	v_add_f32_e32 v97, v111, v97
	v_mul_f32_e32 v111, 0xbf68dda4, v94
	v_fmac_f32_e32 v110, 0x3ed4b147, v92
	v_mov_b32_e32 v164, v111
	v_add_f32_e32 v96, v110, v96
	v_fma_f32 v110, v93, s16, -v111
	v_mul_f32_e32 v111, 0xbf4178ce, v95
	v_fmac_f32_e32 v164, 0x3ed4b147, v93
	v_add_f32_e32 v110, v110, v162
	v_fma_f32 v162, v92, s19, -v111
	v_fmac_f32_e32 v111, 0xbf27a4f4, v92
	v_add_f32_e32 v163, v164, v163
	v_mul_f32_e32 v164, 0xbf4178ce, v94
	v_add_f32_e32 v111, v111, v173
	v_mul_f32_e32 v173, 0x3e903f40, v95
	v_add_f32_e32 v162, v162, v174
	v_mov_b32_e32 v165, v164
	v_fma_f32 v164, v93, s19, -v164
	v_fma_f32 v174, v92, s20, -v173
	v_fmac_f32_e32 v173, 0xbf75a155, v92
	v_fmac_f32_e32 v165, 0xbf27a4f4, v93
	v_add_f32_e32 v164, v164, v175
	v_mul_f32_e32 v175, 0x3e903f40, v94
	v_add_f32_e32 v173, v173, v177
	v_mul_f32_e32 v177, 0x3f7d64f0, v95
	v_add_f32_e32 v165, v165, v176
	v_add_f32_e32 v174, v174, v178
	v_mov_b32_e32 v176, v175
	v_fma_f32 v175, v93, s20, -v175
	v_fma_f32 v178, v92, s17, -v177
	v_fmac_f32_e32 v177, 0xbe11bafb, v92
	v_mul_f32_e32 v95, 0x3f0a6770, v95
	v_add_f32_e32 v175, v175, v179
	v_mul_f32_e32 v179, 0x3f7d64f0, v94
	v_add_f32_e32 v177, v177, v181
	v_fma_f32 v181, v92, s18, -v95
	v_mul_f32_e32 v94, 0x3f0a6770, v94
	v_fmac_f32_e32 v95, 0x3f575c64, v92
	v_fmac_f32_e32 v176, 0xbf75a155, v93
	v_add_f32_e32 v88, v95, v88
	v_fma_f32 v92, v93, s18, -v94
	v_sub_f32_e32 v95, v107, v109
	v_add_f32_e32 v176, v176, v180
	v_add_f32_e32 v178, v178, v182
	v_mov_b32_e32 v180, v179
	v_mov_b32_e32 v182, v94
	v_add_f32_e32 v89, v92, v89
	v_add_f32_e32 v92, v106, v108
	v_sub_f32_e32 v94, v106, v108
	v_mul_f32_e32 v106, 0xbf7d64f0, v95
	v_fmac_f32_e32 v180, 0xbe11bafb, v93
	v_fma_f32 v179, v93, s17, -v179
	v_fmac_f32_e32 v182, 0x3f575c64, v93
	v_add_f32_e32 v93, v107, v109
	v_fma_f32 v107, v92, s17, -v106
	v_add_f32_e32 v97, v107, v97
	v_mul_f32_e32 v107, 0xbf7d64f0, v94
	v_fmac_f32_e32 v106, 0xbe11bafb, v92
	v_mov_b32_e32 v108, v107
	v_add_f32_e32 v96, v106, v96
	v_fma_f32 v106, v93, s17, -v107
	v_mul_f32_e32 v107, 0x3e903f40, v95
	v_fma_f32 v109, v92, s20, -v107
	v_fmac_f32_e32 v107, 0xbf75a155, v92
	v_fmac_f32_e32 v108, 0xbe11bafb, v93
	v_add_f32_e32 v106, v106, v110
	v_mul_f32_e32 v110, 0x3e903f40, v94
	v_add_f32_e32 v107, v107, v111
	v_mul_f32_e32 v111, 0x3f68dda4, v95
	v_add_f32_e32 v108, v108, v163
	v_add_f32_e32 v109, v109, v162
	v_mov_b32_e32 v162, v110
	v_fma_f32 v110, v93, s20, -v110
	v_fma_f32 v163, v92, s16, -v111
	v_fmac_f32_e32 v111, 0x3ed4b147, v92
	v_fmac_f32_e32 v162, 0xbf75a155, v93
	v_add_f32_e32 v110, v110, v164
	v_mul_f32_e32 v164, 0x3f68dda4, v94
	v_add_f32_e32 v111, v111, v173
	v_mul_f32_e32 v173, 0xbf0a6770, v95
	v_add_f32_e32 v162, v162, v165
	v_add_f32_e32 v163, v163, v174
	v_mov_b32_e32 v165, v164
	v_fma_f32 v164, v93, s16, -v164
	v_fma_f32 v174, v92, s18, -v173
	v_fmac_f32_e32 v173, 0x3f575c64, v92
	v_mul_f32_e32 v95, 0xbf4178ce, v95
	v_add_f32_e32 v164, v164, v175
	v_mul_f32_e32 v175, 0xbf0a6770, v94
	v_add_f32_e32 v173, v173, v177
	v_fma_f32 v177, v92, s19, -v95
	v_mul_f32_e32 v94, 0xbf4178ce, v94
	v_fmac_f32_e32 v95, 0xbf27a4f4, v92
	v_fmac_f32_e32 v165, 0x3ed4b147, v93
	v_add_f32_e32 v88, v95, v88
	v_fma_f32 v92, v93, s19, -v94
	v_sub_f32_e32 v95, v103, v105
	v_add_f32_e32 v165, v165, v176
	v_add_f32_e32 v174, v174, v178
	v_mov_b32_e32 v176, v175
	v_mov_b32_e32 v178, v94
	v_add_f32_e32 v89, v92, v89
	v_add_f32_e32 v92, v102, v104
	v_sub_f32_e32 v94, v102, v104
	v_mul_f32_e32 v102, 0xbf4178ce, v95
	v_fmac_f32_e32 v176, 0x3f575c64, v93
	v_fma_f32 v175, v93, s18, -v175
	v_fmac_f32_e32 v178, 0xbf27a4f4, v93
	v_add_f32_e32 v93, v103, v105
	v_fma_f32 v103, v92, s19, -v102
	v_add_f32_e32 v97, v103, v97
	v_mul_f32_e32 v103, 0xbf4178ce, v94
	v_fmac_f32_e32 v102, 0xbf27a4f4, v92
	v_mov_b32_e32 v104, v103
	v_add_f32_e32 v96, v102, v96
	v_fma_f32 v102, v93, s19, -v103
	v_mul_f32_e32 v103, 0x3f7d64f0, v95
	v_fmac_f32_e32 v104, 0xbf27a4f4, v93
	v_add_f32_e32 v102, v102, v106
	v_fma_f32 v105, v92, s17, -v103
	v_mul_f32_e32 v106, 0x3f7d64f0, v94
	v_fmac_f32_e32 v103, 0xbe11bafb, v92
	v_add_f32_e32 v104, v104, v108
	v_mov_b32_e32 v108, v106
	v_add_f32_e32 v103, v103, v107
	v_fma_f32 v106, v93, s17, -v106
	v_mul_f32_e32 v107, 0xbf0a6770, v95
	v_add_f32_e32 v105, v105, v109
	v_fmac_f32_e32 v108, 0xbe11bafb, v93
	v_add_f32_e32 v106, v106, v110
	v_fma_f32 v109, v92, s18, -v107
	v_mul_f32_e32 v110, 0xbf0a6770, v94
	v_fmac_f32_e32 v107, 0x3f575c64, v92
	v_add_f32_e32 v108, v108, v162
	v_mov_b32_e32 v162, v110
	v_add_f32_e32 v107, v107, v111
	v_fma_f32 v110, v93, s18, -v110
	v_mul_f32_e32 v111, 0xbe903f40, v95
	v_add_f32_e32 v179, v179, v183
	v_add_f32_e32 v109, v109, v163
	v_fmac_f32_e32 v162, 0x3f575c64, v93
	v_add_f32_e32 v110, v110, v164
	v_fma_f32 v163, v92, s20, -v111
	v_mul_f32_e32 v164, 0xbe903f40, v94
	v_fmac_f32_e32 v111, 0xbf75a155, v92
	v_mul_f32_e32 v95, 0x3f68dda4, v95
	v_add_f32_e32 v180, v180, v184
	v_add_f32_e32 v181, v181, v185
	;; [unrolled: 1-line block ×4, first 2 shown]
	v_mov_b32_e32 v165, v164
	v_add_f32_e32 v111, v111, v173
	v_fma_f32 v164, v93, s20, -v164
	v_fma_f32 v173, v92, s16, -v95
	v_mul_f32_e32 v94, 0x3f68dda4, v94
	v_fmac_f32_e32 v95, 0x3ed4b147, v92
	v_add_f32_e32 v176, v176, v180
	v_add_f32_e32 v177, v177, v181
	v_fmac_f32_e32 v165, 0xbf75a155, v93
	v_add_f32_e32 v164, v164, v175
	v_add_f32_e32 v175, v95, v88
	v_fma_f32 v88, v93, s16, -v94
	v_sub_f32_e32 v180, v99, v101
	v_add_f32_e32 v165, v165, v176
	v_add_f32_e32 v173, v173, v177
	;; [unrolled: 1-line block ×4, first 2 shown]
	v_mul_f32_e32 v88, 0xbe903f40, v180
	v_add_f32_e32 v182, v182, v186
	v_add_f32_e32 v163, v163, v174
	v_mov_b32_e32 v174, v94
	v_sub_f32_e32 v179, v98, v100
	v_fma_f32 v89, v177, s20, -v88
	v_add_f32_e32 v178, v178, v182
	v_fmac_f32_e32 v174, 0x3ed4b147, v93
	v_add_f32_e32 v94, v89, v97
	v_mul_f32_e32 v89, 0xbe903f40, v179
	v_mul_f32_e32 v98, 0xbf4178ce, v180
	v_add_f32_e32 v174, v174, v178
	v_add_f32_e32 v178, v99, v101
	v_mov_b32_e32 v92, v89
	v_fma_f32 v99, v177, s19, -v98
	v_fmac_f32_e32 v92, 0xbf75a155, v178
	v_add_f32_e32 v100, v99, v109
	v_mul_f32_e32 v99, 0xbf4178ce, v179
	v_add_f32_e32 v95, v92, v104
	v_fma_f32 v89, v178, s20, -v89
	v_mov_b32_e32 v101, v99
	v_fma_f32 v99, v178, s19, -v99
	v_mul_f32_e32 v104, 0x3f68dda4, v180
	v_add_f32_e32 v89, v89, v102
	v_add_f32_e32 v99, v99, v110
	v_fma_f32 v102, v177, s16, -v104
	v_fmac_f32_e32 v104, 0x3ed4b147, v177
	v_add_f32_e32 v110, v90, v154
	v_add_f32_e32 v104, v104, v111
	;; [unrolled: 1-line block ×4, first 2 shown]
	v_mul_f32_e32 v92, 0x3f0a6770, v180
	v_add_f32_e32 v111, v111, v151
	v_add_f32_e32 v110, v110, v146
	v_fmac_f32_e32 v88, 0xbf75a155, v177
	v_fma_f32 v93, v177, s18, -v92
	v_add_f32_e32 v111, v111, v147
	v_add_f32_e32 v110, v110, v140
	;; [unrolled: 1-line block ×4, first 2 shown]
	v_mul_f32_e32 v93, 0x3f0a6770, v179
	v_add_f32_e32 v111, v111, v141
	v_add_f32_e32 v110, v110, v132
	v_mov_b32_e32 v97, v93
	v_add_f32_e32 v111, v111, v133
	v_add_f32_e32 v110, v110, v134
	v_fmac_f32_e32 v97, 0x3f575c64, v178
	v_add_f32_e32 v111, v111, v135
	v_add_f32_e32 v110, v110, v142
	v_add_f32_e32 v97, v97, v108
	v_fmac_f32_e32 v92, 0x3f575c64, v177
	v_fma_f32 v93, v178, s18, -v93
	v_fmac_f32_e32 v101, 0xbf27a4f4, v178
	v_fmac_f32_e32 v98, 0xbf27a4f4, v177
	v_mul_f32_e32 v105, 0x3f68dda4, v179
	v_mul_f32_e32 v108, 0xbf7d64f0, v180
	;; [unrolled: 1-line block ×3, first 2 shown]
	v_add_f32_e32 v111, v111, v143
	v_add_f32_e32 v110, v110, v148
	;; [unrolled: 1-line block ×7, first 2 shown]
	v_mov_b32_e32 v103, v105
	v_fma_f32 v105, v178, s16, -v105
	v_fma_f32 v106, v177, s17, -v108
	v_mov_b32_e32 v107, v109
	v_fmac_f32_e32 v108, 0xbe11bafb, v177
	v_add_f32_e32 v111, v111, v149
	v_add_f32_e32 v110, v110, v152
	v_add_f32_e32 v162, v154, v156
	v_add_f32_e32 v163, v155, v157
	v_sub_f32_e32 v154, v154, v156
	v_sub_f32_e32 v155, v155, v157
	v_fmac_f32_e32 v103, 0x3ed4b147, v178
	v_add_f32_e32 v105, v105, v164
	v_add_f32_e32 v106, v106, v173
	v_fmac_f32_e32 v107, 0xbe11bafb, v178
	v_add_f32_e32 v108, v108, v175
	v_fma_f32 v109, v178, s17, -v109
	v_add_f32_e32 v111, v111, v153
	v_add_f32_e32 v110, v110, v156
	v_mul_f32_e32 v156, 0xbf0a6770, v155
	v_mul_f32_e32 v164, 0xbf0a6770, v154
	;; [unrolled: 1-line block ×10, first 2 shown]
	v_add_f32_e32 v103, v103, v165
	v_add_f32_e32 v107, v107, v174
	;; [unrolled: 1-line block ×4, first 2 shown]
	v_fma_f32 v157, v162, s18, -v156
	v_mov_b32_e32 v165, v164
	v_fmac_f32_e32 v156, 0x3f575c64, v162
	v_fma_f32 v174, v162, s16, -v173
	v_mov_b32_e32 v176, v175
	v_fmac_f32_e32 v173, 0x3ed4b147, v162
	;; [unrolled: 3-line block ×5, first 2 shown]
	v_add_f32_e32 v157, v90, v157
	v_fmac_f32_e32 v165, 0x3f575c64, v163
	v_add_f32_e32 v156, v90, v156
	v_fma_f32 v164, v163, s18, -v164
	v_add_f32_e32 v174, v90, v174
	v_fmac_f32_e32 v176, 0x3ed4b147, v163
	v_add_f32_e32 v173, v90, v173
	v_fma_f32 v175, v163, s16, -v175
	;; [unrolled: 4-line block ×5, first 2 shown]
	v_add_f32_e32 v155, v151, v153
	v_sub_f32_e32 v151, v151, v153
	v_add_f32_e32 v165, v91, v165
	v_add_f32_e32 v164, v91, v164
	;; [unrolled: 1-line block ×11, first 2 shown]
	v_sub_f32_e32 v150, v150, v152
	v_mul_f32_e32 v152, 0xbf68dda4, v151
	v_fma_f32 v153, v154, s16, -v152
	v_add_f32_e32 v153, v153, v157
	v_mul_f32_e32 v157, 0xbf68dda4, v150
	v_fmac_f32_e32 v152, 0x3ed4b147, v154
	v_mov_b32_e32 v162, v157
	v_add_f32_e32 v152, v152, v156
	v_fma_f32 v156, v155, s16, -v157
	v_mul_f32_e32 v157, 0xbf4178ce, v151
	v_fma_f32 v163, v154, s19, -v157
	v_fmac_f32_e32 v157, 0xbf27a4f4, v154
	v_fmac_f32_e32 v162, 0x3ed4b147, v155
	v_add_f32_e32 v156, v156, v164
	v_mul_f32_e32 v164, 0xbf4178ce, v150
	v_add_f32_e32 v157, v157, v173
	v_mul_f32_e32 v173, 0x3e903f40, v151
	v_add_f32_e32 v162, v162, v165
	v_add_f32_e32 v163, v163, v174
	v_mov_b32_e32 v165, v164
	v_fma_f32 v164, v155, s19, -v164
	v_fma_f32 v174, v154, s20, -v173
	v_fmac_f32_e32 v173, 0xbf75a155, v154
	v_fmac_f32_e32 v165, 0xbf27a4f4, v155
	v_add_f32_e32 v164, v164, v175
	v_mul_f32_e32 v175, 0x3e903f40, v150
	v_add_f32_e32 v173, v173, v177
	v_mul_f32_e32 v177, 0x3f7d64f0, v151
	v_add_f32_e32 v165, v165, v176
	v_add_f32_e32 v174, v174, v178
	v_mov_b32_e32 v176, v175
	v_fma_f32 v175, v155, s20, -v175
	v_fma_f32 v178, v154, s17, -v177
	v_fmac_f32_e32 v177, 0xbe11bafb, v154
	v_mul_f32_e32 v151, 0x3f0a6770, v151
	v_add_f32_e32 v175, v175, v179
	v_mul_f32_e32 v179, 0x3f7d64f0, v150
	v_add_f32_e32 v177, v177, v181
	v_fma_f32 v181, v154, s18, -v151
	v_mul_f32_e32 v150, 0x3f0a6770, v150
	v_fmac_f32_e32 v151, 0x3f575c64, v154
	v_add_f32_e32 v178, v178, v182
	v_mov_b32_e32 v182, v150
	v_add_f32_e32 v90, v151, v90
	v_fma_f32 v150, v155, s18, -v150
	v_add_f32_e32 v151, v147, v149
	v_sub_f32_e32 v147, v147, v149
	v_add_f32_e32 v91, v150, v91
	v_add_f32_e32 v150, v146, v148
	v_sub_f32_e32 v146, v146, v148
	v_mul_f32_e32 v148, 0xbf7d64f0, v147
	v_fma_f32 v149, v150, s17, -v148
	v_fmac_f32_e32 v176, 0xbf75a155, v155
	v_add_f32_e32 v149, v149, v153
	v_mul_f32_e32 v153, 0xbf7d64f0, v146
	v_fmac_f32_e32 v148, 0xbe11bafb, v150
	v_add_f32_e32 v176, v176, v180
	v_mov_b32_e32 v180, v179
	v_mov_b32_e32 v154, v153
	v_add_f32_e32 v148, v148, v152
	v_fma_f32 v152, v151, s17, -v153
	v_mul_f32_e32 v153, 0x3e903f40, v147
	v_fmac_f32_e32 v180, 0xbe11bafb, v155
	v_fma_f32 v179, v155, s17, -v179
	v_fmac_f32_e32 v182, 0x3f575c64, v155
	v_fma_f32 v155, v150, s20, -v153
	v_fmac_f32_e32 v153, 0xbf75a155, v150
	v_fmac_f32_e32 v154, 0xbe11bafb, v151
	v_add_f32_e32 v152, v152, v156
	v_mul_f32_e32 v156, 0x3e903f40, v146
	v_add_f32_e32 v153, v153, v157
	v_mul_f32_e32 v157, 0x3f68dda4, v147
	v_add_f32_e32 v154, v154, v162
	v_add_f32_e32 v155, v155, v163
	v_mov_b32_e32 v162, v156
	v_fma_f32 v156, v151, s20, -v156
	v_fma_f32 v163, v150, s16, -v157
	v_fmac_f32_e32 v157, 0x3ed4b147, v150
	v_fmac_f32_e32 v162, 0xbf75a155, v151
	v_add_f32_e32 v156, v156, v164
	v_mul_f32_e32 v164, 0x3f68dda4, v146
	v_add_f32_e32 v157, v157, v173
	v_mul_f32_e32 v173, 0xbf0a6770, v147
	v_add_f32_e32 v162, v162, v165
	v_add_f32_e32 v163, v163, v174
	v_mov_b32_e32 v165, v164
	v_fma_f32 v164, v151, s16, -v164
	v_fma_f32 v174, v150, s18, -v173
	v_fmac_f32_e32 v173, 0x3f575c64, v150
	v_mul_f32_e32 v147, 0xbf4178ce, v147
	v_add_f32_e32 v164, v164, v175
	v_mul_f32_e32 v175, 0xbf0a6770, v146
	v_add_f32_e32 v173, v173, v177
	v_fma_f32 v177, v150, s19, -v147
	v_mul_f32_e32 v146, 0xbf4178ce, v146
	v_fmac_f32_e32 v147, 0xbf27a4f4, v150
	v_add_f32_e32 v174, v174, v178
	v_mov_b32_e32 v178, v146
	v_add_f32_e32 v90, v147, v90
	v_fma_f32 v146, v151, s19, -v146
	v_add_f32_e32 v147, v141, v143
	v_sub_f32_e32 v141, v141, v143
	v_add_f32_e32 v91, v146, v91
	v_add_f32_e32 v146, v140, v142
	v_sub_f32_e32 v140, v140, v142
	v_mul_f32_e32 v142, 0xbf4178ce, v141
	v_fma_f32 v143, v146, s19, -v142
	v_fmac_f32_e32 v165, 0x3ed4b147, v151
	v_add_f32_e32 v143, v143, v149
	v_mul_f32_e32 v149, 0xbf4178ce, v140
	v_fmac_f32_e32 v142, 0xbf27a4f4, v146
	v_add_f32_e32 v165, v165, v176
	v_mov_b32_e32 v176, v175
	v_mov_b32_e32 v150, v149
	v_add_f32_e32 v142, v142, v148
	v_fma_f32 v148, v147, s19, -v149
	v_mul_f32_e32 v149, 0x3f7d64f0, v141
	v_fmac_f32_e32 v176, 0x3f575c64, v151
	v_fma_f32 v175, v151, s18, -v175
	v_fmac_f32_e32 v178, 0xbf27a4f4, v151
	v_fmac_f32_e32 v150, 0xbf27a4f4, v147
	v_add_f32_e32 v148, v148, v152
	v_fma_f32 v151, v146, s17, -v149
	v_mul_f32_e32 v152, 0x3f7d64f0, v140
	v_fmac_f32_e32 v149, 0xbe11bafb, v146
	v_add_f32_e32 v150, v150, v154
	v_mov_b32_e32 v154, v152
	v_add_f32_e32 v149, v149, v153
	v_fma_f32 v152, v147, s17, -v152
	v_mul_f32_e32 v153, 0xbf0a6770, v141
	v_add_f32_e32 v151, v151, v155
	v_fmac_f32_e32 v154, 0xbe11bafb, v147
	v_add_f32_e32 v152, v152, v156
	v_fma_f32 v155, v146, s18, -v153
	v_mul_f32_e32 v156, 0xbf0a6770, v140
	v_fmac_f32_e32 v153, 0x3f575c64, v146
	v_add_f32_e32 v154, v154, v162
	v_mov_b32_e32 v162, v156
	v_add_f32_e32 v153, v153, v157
	v_fma_f32 v156, v147, s18, -v156
	v_mul_f32_e32 v157, 0xbe903f40, v141
	v_add_f32_e32 v155, v155, v163
	v_add_f32_e32 v156, v156, v164
	v_fma_f32 v163, v146, s20, -v157
	v_mul_f32_e32 v164, 0xbe903f40, v140
	v_mul_f32_e32 v140, 0x3f68dda4, v140
	v_add_f32_e32 v179, v179, v183
	v_add_f32_e32 v182, v182, v186
	v_fmac_f32_e32 v162, 0x3f575c64, v147
	v_add_f32_e32 v163, v163, v174
	v_fmac_f32_e32 v157, 0xbf75a155, v146
	v_mul_f32_e32 v141, 0x3f68dda4, v141
	v_mov_b32_e32 v174, v140
	v_add_f32_e32 v180, v180, v184
	v_add_f32_e32 v181, v181, v185
	;; [unrolled: 1-line block ×5, first 2 shown]
	v_mov_b32_e32 v165, v164
	v_add_f32_e32 v157, v157, v173
	v_fma_f32 v164, v147, s20, -v164
	v_fma_f32 v173, v146, s16, -v141
	v_fmac_f32_e32 v174, 0x3ed4b147, v147
	v_fmac_f32_e32 v141, 0x3ed4b147, v146
	v_sub_f32_e32 v179, v132, v134
	v_add_f32_e32 v176, v176, v180
	v_add_f32_e32 v177, v177, v181
	v_fmac_f32_e32 v165, 0xbf75a155, v147
	v_add_f32_e32 v164, v164, v175
	v_add_f32_e32 v174, v174, v178
	;; [unrolled: 1-line block ×3, first 2 shown]
	v_fma_f32 v90, v147, s16, -v140
	v_add_f32_e32 v178, v133, v135
	v_sub_f32_e32 v180, v133, v135
	v_mul_f32_e32 v133, 0xbe903f40, v179
	v_add_f32_e32 v165, v165, v176
	v_add_f32_e32 v173, v173, v177
	;; [unrolled: 1-line block ×4, first 2 shown]
	v_mul_f32_e32 v132, 0xbe903f40, v180
	v_mov_b32_e32 v91, v133
	v_fma_f32 v90, v177, s20, -v132
	v_fmac_f32_e32 v91, 0xbf75a155, v178
	v_mul_f32_e32 v147, 0xbf4178ce, v179
	v_add_f32_e32 v90, v90, v143
	v_add_f32_e32 v91, v91, v150
	v_fma_f32 v133, v178, s20, -v133
	v_mov_b32_e32 v143, v147
	v_fma_f32 v147, v178, s19, -v147
	v_mul_f32_e32 v150, 0x3f68dda4, v180
	v_add_f32_e32 v133, v133, v148
	v_add_f32_e32 v147, v147, v156
	v_fma_f32 v148, v177, s16, -v150
	v_fmac_f32_e32 v150, 0x3ed4b147, v177
	v_add_f32_e32 v156, v84, v144
	v_add_f32_e32 v150, v150, v157
	;; [unrolled: 1-line block ×8, first 2 shown]
	v_mul_f32_e32 v141, 0x3f0a6770, v179
	v_add_f32_e32 v157, v157, v127
	v_add_f32_e32 v156, v156, v121
	v_fmac_f32_e32 v132, 0xbf75a155, v177
	v_mul_f32_e32 v140, 0x3f0a6770, v180
	v_mov_b32_e32 v135, v141
	v_mul_f32_e32 v146, 0xbf4178ce, v180
	v_add_f32_e32 v157, v157, v122
	v_add_f32_e32 v156, v156, v123
	;; [unrolled: 1-line block ×3, first 2 shown]
	v_fma_f32 v134, v177, s18, -v140
	v_fmac_f32_e32 v135, 0x3f575c64, v178
	v_fma_f32 v142, v177, s19, -v146
	v_add_f32_e32 v157, v157, v125
	v_add_f32_e32 v156, v156, v128
	;; [unrolled: 1-line block ×4, first 2 shown]
	v_fmac_f32_e32 v140, 0x3f575c64, v177
	v_fma_f32 v141, v178, s18, -v141
	v_add_f32_e32 v142, v142, v155
	v_fmac_f32_e32 v143, 0xbf27a4f4, v178
	v_fmac_f32_e32 v146, 0xbf27a4f4, v177
	v_mul_f32_e32 v151, 0x3f68dda4, v179
	v_mul_f32_e32 v154, 0xbf7d64f0, v180
	;; [unrolled: 1-line block ×3, first 2 shown]
	v_add_f32_e32 v157, v157, v129
	v_add_f32_e32 v156, v156, v136
	;; [unrolled: 1-line block ×7, first 2 shown]
	v_mov_b32_e32 v149, v151
	v_fma_f32 v151, v178, s16, -v151
	v_fma_f32 v152, v177, s17, -v154
	v_mov_b32_e32 v153, v155
	v_fmac_f32_e32 v154, 0xbe11bafb, v177
	v_add_f32_e32 v157, v157, v137
	v_add_f32_e32 v156, v156, v158
	;; [unrolled: 1-line block ×4, first 2 shown]
	v_sub_f32_e32 v144, v144, v160
	v_sub_f32_e32 v145, v145, v161
	v_fmac_f32_e32 v149, 0x3ed4b147, v178
	v_add_f32_e32 v151, v151, v164
	v_add_f32_e32 v152, v152, v173
	v_fmac_f32_e32 v153, 0xbe11bafb, v178
	v_add_f32_e32 v154, v154, v175
	v_fma_f32 v155, v178, s17, -v155
	v_add_f32_e32 v157, v157, v159
	v_add_f32_e32 v156, v156, v160
	v_mul_f32_e32 v160, 0xbf0a6770, v145
	v_mul_f32_e32 v164, 0xbf0a6770, v144
	;; [unrolled: 1-line block ×10, first 2 shown]
	v_add_f32_e32 v149, v149, v165
	v_add_f32_e32 v153, v153, v174
	;; [unrolled: 1-line block ×4, first 2 shown]
	v_fma_f32 v161, v162, s18, -v160
	v_mov_b32_e32 v165, v164
	v_fmac_f32_e32 v160, 0x3f575c64, v162
	v_fma_f32 v174, v162, s16, -v173
	v_mov_b32_e32 v176, v175
	v_fmac_f32_e32 v173, 0x3ed4b147, v162
	;; [unrolled: 3-line block ×5, first 2 shown]
	v_add_f32_e32 v161, v84, v161
	v_fmac_f32_e32 v165, 0x3f575c64, v163
	v_add_f32_e32 v160, v84, v160
	v_fma_f32 v164, v163, s18, -v164
	v_add_f32_e32 v174, v84, v174
	v_fmac_f32_e32 v176, 0x3ed4b147, v163
	v_add_f32_e32 v173, v84, v173
	v_fma_f32 v175, v163, s16, -v175
	;; [unrolled: 4-line block ×5, first 2 shown]
	v_add_f32_e32 v145, v139, v159
	v_sub_f32_e32 v139, v139, v159
	v_add_f32_e32 v165, v85, v165
	v_add_f32_e32 v164, v85, v164
	;; [unrolled: 1-line block ×11, first 2 shown]
	v_sub_f32_e32 v138, v138, v158
	v_mul_f32_e32 v158, 0xbf68dda4, v139
	v_fma_f32 v159, v144, s16, -v158
	v_add_f32_e32 v159, v159, v161
	v_mul_f32_e32 v161, 0xbf68dda4, v138
	v_fmac_f32_e32 v158, 0x3ed4b147, v144
	v_mov_b32_e32 v162, v161
	v_add_f32_e32 v158, v158, v160
	v_fma_f32 v160, v145, s16, -v161
	v_mul_f32_e32 v161, 0xbf4178ce, v139
	v_fma_f32 v163, v144, s19, -v161
	v_fmac_f32_e32 v161, 0xbf27a4f4, v144
	v_fmac_f32_e32 v162, 0x3ed4b147, v145
	v_add_f32_e32 v160, v160, v164
	v_mul_f32_e32 v164, 0xbf4178ce, v138
	v_add_f32_e32 v161, v161, v173
	v_mul_f32_e32 v173, 0x3e903f40, v139
	v_add_f32_e32 v162, v162, v165
	v_add_f32_e32 v163, v163, v174
	v_mov_b32_e32 v165, v164
	v_fma_f32 v164, v145, s19, -v164
	v_fma_f32 v174, v144, s20, -v173
	v_fmac_f32_e32 v173, 0xbf75a155, v144
	v_fmac_f32_e32 v165, 0xbf27a4f4, v145
	v_add_f32_e32 v164, v164, v175
	v_mul_f32_e32 v175, 0x3e903f40, v138
	v_add_f32_e32 v173, v173, v177
	v_mul_f32_e32 v177, 0x3f7d64f0, v139
	v_add_f32_e32 v165, v165, v176
	v_add_f32_e32 v174, v174, v178
	v_mov_b32_e32 v176, v175
	v_fma_f32 v175, v145, s20, -v175
	v_fma_f32 v178, v144, s17, -v177
	v_fmac_f32_e32 v177, 0xbe11bafb, v144
	v_mul_f32_e32 v139, 0x3f0a6770, v139
	v_add_f32_e32 v175, v175, v179
	v_mul_f32_e32 v179, 0x3f7d64f0, v138
	v_add_f32_e32 v177, v177, v181
	v_fma_f32 v181, v144, s18, -v139
	v_mul_f32_e32 v138, 0x3f0a6770, v138
	v_fmac_f32_e32 v139, 0x3f575c64, v144
	v_add_f32_e32 v178, v178, v182
	v_mov_b32_e32 v182, v138
	v_add_f32_e32 v84, v139, v84
	v_fma_f32 v138, v145, s18, -v138
	v_add_f32_e32 v139, v131, v137
	v_sub_f32_e32 v131, v131, v137
	v_add_f32_e32 v85, v138, v85
	v_add_f32_e32 v138, v130, v136
	v_sub_f32_e32 v130, v130, v136
	v_mul_f32_e32 v136, 0xbf7d64f0, v131
	v_fmac_f32_e32 v176, 0xbf75a155, v145
	v_fma_f32 v137, v138, s17, -v136
	v_fmac_f32_e32 v136, 0xbe11bafb, v138
	v_add_f32_e32 v176, v176, v180
	v_mov_b32_e32 v180, v179
	v_mul_f32_e32 v144, 0xbf7d64f0, v130
	v_add_f32_e32 v136, v136, v158
	v_mul_f32_e32 v158, 0x3e903f40, v131
	v_fmac_f32_e32 v180, 0xbe11bafb, v145
	v_fma_f32 v179, v145, s17, -v179
	v_fmac_f32_e32 v182, 0x3f575c64, v145
	v_add_f32_e32 v137, v137, v159
	v_mov_b32_e32 v145, v144
	v_fma_f32 v144, v139, s17, -v144
	v_fma_f32 v159, v138, s20, -v158
	v_fmac_f32_e32 v158, 0xbf75a155, v138
	v_fmac_f32_e32 v145, 0xbe11bafb, v139
	v_add_f32_e32 v144, v144, v160
	v_mul_f32_e32 v160, 0x3e903f40, v130
	v_add_f32_e32 v158, v158, v161
	v_mul_f32_e32 v161, 0x3f68dda4, v131
	v_add_f32_e32 v145, v145, v162
	v_add_f32_e32 v159, v159, v163
	v_mov_b32_e32 v162, v160
	v_fma_f32 v160, v139, s20, -v160
	v_fma_f32 v163, v138, s16, -v161
	v_fmac_f32_e32 v161, 0x3ed4b147, v138
	v_fmac_f32_e32 v162, 0xbf75a155, v139
	v_add_f32_e32 v160, v160, v164
	v_mul_f32_e32 v164, 0x3f68dda4, v130
	v_add_f32_e32 v161, v161, v173
	v_mul_f32_e32 v173, 0xbf0a6770, v131
	v_add_f32_e32 v162, v162, v165
	v_add_f32_e32 v163, v163, v174
	v_mov_b32_e32 v165, v164
	v_fma_f32 v164, v139, s16, -v164
	v_fma_f32 v174, v138, s18, -v173
	v_fmac_f32_e32 v173, 0x3f575c64, v138
	v_mul_f32_e32 v131, 0xbf4178ce, v131
	v_add_f32_e32 v164, v164, v175
	v_mul_f32_e32 v175, 0xbf0a6770, v130
	v_add_f32_e32 v173, v173, v177
	v_fma_f32 v177, v138, s19, -v131
	v_mul_f32_e32 v130, 0xbf4178ce, v130
	v_fmac_f32_e32 v131, 0xbf27a4f4, v138
	v_add_f32_e32 v174, v174, v178
	v_mov_b32_e32 v178, v130
	v_add_f32_e32 v84, v131, v84
	v_fma_f32 v130, v139, s19, -v130
	v_add_f32_e32 v131, v127, v129
	v_sub_f32_e32 v127, v127, v129
	v_add_f32_e32 v85, v130, v85
	v_add_f32_e32 v130, v126, v128
	v_sub_f32_e32 v126, v126, v128
	v_mul_f32_e32 v128, 0xbf4178ce, v127
	v_fma_f32 v129, v130, s19, -v128
	v_fmac_f32_e32 v165, 0x3ed4b147, v139
	v_add_f32_e32 v129, v129, v137
	v_mul_f32_e32 v137, 0xbf4178ce, v126
	v_fmac_f32_e32 v128, 0xbf27a4f4, v130
	v_add_f32_e32 v165, v165, v176
	v_mov_b32_e32 v176, v175
	v_mov_b32_e32 v138, v137
	v_add_f32_e32 v128, v128, v136
	v_fma_f32 v136, v131, s19, -v137
	v_mul_f32_e32 v137, 0x3f7d64f0, v127
	v_fmac_f32_e32 v176, 0x3f575c64, v139
	v_fma_f32 v175, v139, s18, -v175
	v_fmac_f32_e32 v178, 0xbf27a4f4, v139
	v_fmac_f32_e32 v138, 0xbf27a4f4, v131
	v_add_f32_e32 v136, v136, v144
	v_fma_f32 v139, v130, s17, -v137
	v_mul_f32_e32 v144, 0x3f7d64f0, v126
	v_fmac_f32_e32 v137, 0xbe11bafb, v130
	v_add_f32_e32 v138, v138, v145
	v_mov_b32_e32 v145, v144
	v_add_f32_e32 v137, v137, v158
	v_fma_f32 v144, v131, s17, -v144
	v_mul_f32_e32 v158, 0xbf0a6770, v127
	v_add_f32_e32 v139, v139, v159
	v_fmac_f32_e32 v145, 0xbe11bafb, v131
	v_add_f32_e32 v144, v144, v160
	v_fma_f32 v159, v130, s18, -v158
	v_mul_f32_e32 v160, 0xbf0a6770, v126
	v_fmac_f32_e32 v158, 0x3f575c64, v130
	v_add_f32_e32 v145, v145, v162
	v_mov_b32_e32 v162, v160
	v_add_f32_e32 v158, v158, v161
	v_fma_f32 v160, v131, s18, -v160
	v_mul_f32_e32 v161, 0xbe903f40, v127
	v_add_f32_e32 v159, v159, v163
	v_add_f32_e32 v160, v160, v164
	v_fma_f32 v163, v130, s20, -v161
	v_mul_f32_e32 v164, 0xbe903f40, v126
	v_mul_f32_e32 v126, 0x3f68dda4, v126
	v_add_f32_e32 v182, v182, v186
	v_fmac_f32_e32 v162, 0x3f575c64, v131
	v_add_f32_e32 v163, v163, v174
	v_mov_b32_e32 v174, v126
	v_add_f32_e32 v180, v180, v184
	v_add_f32_e32 v179, v179, v183
	;; [unrolled: 1-line block ×4, first 2 shown]
	v_mov_b32_e32 v165, v164
	v_fmac_f32_e32 v161, 0xbf75a155, v130
	v_mul_f32_e32 v127, 0x3f68dda4, v127
	v_fmac_f32_e32 v174, 0x3ed4b147, v131
	v_add_f32_e32 v176, v176, v180
	v_add_f32_e32 v175, v175, v179
	v_fmac_f32_e32 v165, 0xbf75a155, v131
	v_add_f32_e32 v161, v161, v173
	v_fma_f32 v164, v131, s20, -v164
	v_fma_f32 v173, v130, s16, -v127
	v_add_f32_e32 v174, v174, v178
	v_fmac_f32_e32 v127, 0x3ed4b147, v130
	v_sub_f32_e32 v178, v122, v125
	v_add_f32_e32 v181, v181, v185
	v_add_f32_e32 v165, v165, v176
	;; [unrolled: 1-line block ×4, first 2 shown]
	v_fma_f32 v84, v131, s16, -v126
	v_add_f32_e32 v176, v121, v123
	v_sub_f32_e32 v123, v121, v123
	v_mul_f32_e32 v121, 0xbe903f40, v178
	v_add_f32_e32 v177, v177, v181
	v_add_f32_e32 v131, v84, v85
	v_fma_f32 v84, v176, s20, -v121
	v_fmac_f32_e32 v121, 0xbf75a155, v176
	v_add_f32_e32 v173, v173, v177
	v_add_f32_e32 v177, v122, v125
	v_mul_f32_e32 v122, 0xbe903f40, v123
	v_add_f32_e32 v121, v121, v128
	v_mul_f32_e32 v127, 0x3f0a6770, v178
	v_mul_f32_e32 v128, 0x3f0a6770, v123
	v_mov_b32_e32 v85, v122
	v_fma_f32 v122, v177, s20, -v122
	v_fma_f32 v125, v176, s18, -v127
	v_mov_b32_e32 v126, v128
	v_fmac_f32_e32 v127, 0x3f575c64, v176
	v_add_f32_e32 v122, v122, v136
	v_fmac_f32_e32 v126, 0x3f575c64, v177
	v_add_f32_e32 v127, v127, v137
	v_mul_f32_e32 v136, 0xbf4178ce, v178
	v_mul_f32_e32 v137, 0xbf4178ce, v123
	v_add_f32_e32 v84, v84, v129
	v_add_f32_e32 v126, v126, v145
	v_fma_f32 v128, v177, s18, -v128
	v_fma_f32 v129, v176, s19, -v136
	v_mov_b32_e32 v130, v137
	v_fma_f32 v137, v177, s19, -v137
	v_mul_f32_e32 v145, 0x3f68dda4, v123
	v_mul_f32_e32 v123, 0xbf7d64f0, v123
	v_fmac_f32_e32 v85, 0xbf75a155, v177
	v_add_f32_e32 v125, v125, v139
	v_add_f32_e32 v128, v128, v144
	;; [unrolled: 1-line block ×3, first 2 shown]
	v_fmac_f32_e32 v136, 0xbf27a4f4, v176
	v_add_f32_e32 v137, v137, v160
	v_mul_f32_e32 v144, 0x3f68dda4, v178
	v_mov_b32_e32 v139, v145
	v_mul_f32_e32 v160, 0xbf7d64f0, v178
	v_mov_b32_e32 v159, v123
	v_add_f32_e32 v85, v85, v138
	v_fmac_f32_e32 v130, 0xbf27a4f4, v177
	v_add_f32_e32 v136, v136, v158
	v_fma_f32 v138, v176, s16, -v144
	v_fmac_f32_e32 v139, 0x3ed4b147, v177
	v_fma_f32 v158, v176, s17, -v160
	v_fmac_f32_e32 v159, 0xbe11bafb, v177
	ds_write2_b64 v237, v[86:87], v[94:95] offset1:51
	ds_write2_b64 v237, v[96:97], v[100:101] offset0:102 offset1:153
	ds_write2_b64 v237, v[102:103], v[106:107] offset0:204 offset1:255
	;; [unrolled: 1-line block ×10, first 2 shown]
	v_add_u32_e32 v86, 0x2000, v0
	v_add_f32_e32 v130, v130, v162
	v_add_f32_e32 v138, v138, v163
	;; [unrolled: 1-line block ×3, first 2 shown]
	v_fmac_f32_e32 v144, 0x3ed4b147, v176
	v_fma_f32 v145, v177, s16, -v145
	v_add_f32_e32 v158, v158, v173
	v_add_f32_e32 v159, v159, v174
	v_fmac_f32_e32 v160, 0xbe11bafb, v176
	v_fma_f32 v123, v177, s17, -v123
	ds_write2_b64 v86, v[156:157], v[84:85] offset0:98 offset1:149
	ds_write2_b64 v86, v[125:126], v[129:130] offset0:200 offset1:251
	v_add_u32_e32 v84, 0x2800, v0
	v_add_f32_e32 v144, v144, v161
	v_add_f32_e32 v145, v145, v164
	;; [unrolled: 1-line block ×4, first 2 shown]
	ds_write2_b64 v84, v[138:139], v[158:159] offset0:46 offset1:97
	ds_write2_b64 v84, v[160:161], v[144:145] offset0:148 offset1:199
	v_add_u32_e32 v84, 0x2c00, v0
	ds_write2_b64 v84, v[136:137], v[127:128] offset0:122 offset1:173
	v_lshlrev_b32_e32 v84, 4, v215
	v_add_co_u32_e32 v84, vcc, s2, v84
	v_mov_b32_e32 v125, s3
	v_addc_co_u32_e32 v85, vcc, 0, v125, vcc
	v_add_co_u32_e32 v84, vcc, s13, v84
	v_addc_co_u32_e32 v85, vcc, 0, v85, vcc
	buffer_store_dword v0, off, s[24:27], 0 offset:188 ; 4-byte Folded Spill
	ds_write_b64 v0, v[121:122] offset:13056
	s_waitcnt lgkmcnt(0)
	; wave barrier
	s_waitcnt lgkmcnt(0)
	ds_read2_b64 v[162:165], v237 offset1:51
	ds_read2_b64 v[132:135], v171 offset0:126 offset1:177
	ds_read2_b64 v[90:93], v170 offset0:98 offset1:149
	;; [unrolled: 1-line block ×15, first 2 shown]
	ds_read_b64 v[148:149], v237 offset:13056
	global_load_dwordx4 v[84:87], v[84:85], off offset:256
	s_waitcnt vmcnt(0) lgkmcnt(14)
	v_mul_f32_e32 v88, v135, v85
	v_fma_f32 v150, v134, v84, -v88
	v_mul_f32_e32 v134, v134, v85
	v_mul_f32_e32 v88, v91, v87
	v_fmac_f32_e32 v134, v135, v84
	v_fma_f32 v135, v90, v86, -v88
	v_lshlrev_b32_e32 v88, 4, v210
	v_add_co_u32_e32 v88, vcc, s2, v88
	v_addc_co_u32_e32 v89, vcc, 0, v125, vcc
	v_add_co_u32_e32 v88, vcc, s13, v88
	v_mul_f32_e32 v151, v90, v87
	v_addc_co_u32_e32 v89, vcc, 0, v89, vcc
	v_fmac_f32_e32 v151, v91, v86
	global_load_dwordx4 v[88:91], v[88:89], off offset:256
	s_waitcnt vmcnt(0) lgkmcnt(13)
	v_mul_f32_e32 v110, v95, v89
	v_fma_f32 v152, v94, v88, -v110
	v_mul_f32_e32 v153, v94, v89
	v_mul_f32_e32 v94, v93, v91
	v_fma_f32 v185, v92, v90, -v94
	v_mul_f32_e32 v186, v92, v91
	v_lshlrev_b32_e32 v92, 4, v118
	v_add_co_u32_e32 v92, vcc, s2, v92
	v_fmac_f32_e32 v186, v93, v90
	v_addc_co_u32_e32 v93, vcc, 0, v125, vcc
	v_add_co_u32_e32 v92, vcc, s13, v92
	v_addc_co_u32_e32 v93, vcc, 0, v93, vcc
	v_fmac_f32_e32 v153, v95, v88
	global_load_dwordx4 v[92:95], v[92:93], off offset:256
	s_waitcnt vmcnt(0)
	v_mul_f32_e32 v110, v97, v93
	v_fma_f32 v187, v96, v92, -v110
	v_mul_f32_e32 v189, v96, v93
	s_waitcnt lgkmcnt(11)
	v_mul_f32_e32 v96, v99, v95
	v_fma_f32 v190, v98, v94, -v96
	v_lshlrev_b32_e32 v96, 4, v117
	v_add_co_u32_e32 v96, vcc, s2, v96
	v_fmac_f32_e32 v189, v97, v92
	v_addc_co_u32_e32 v97, vcc, 0, v125, vcc
	v_add_co_u32_e32 v96, vcc, s13, v96
	v_mul_f32_e32 v191, v98, v95
	v_addc_co_u32_e32 v97, vcc, 0, v97, vcc
	v_fmac_f32_e32 v191, v99, v94
	global_load_dwordx4 v[96:99], v[96:97], off offset:256
	s_waitcnt vmcnt(0) lgkmcnt(10)
	v_mul_f32_e32 v110, v103, v97
	v_fma_f32 v192, v102, v96, -v110
	v_mul_f32_e32 v193, v102, v97
	v_mul_f32_e32 v102, v101, v99
	v_fma_f32 v194, v100, v98, -v102
	v_mul_f32_e32 v195, v100, v99
	v_lshlrev_b32_e32 v100, 4, v115
	v_add_co_u32_e32 v100, vcc, s2, v100
	v_fmac_f32_e32 v195, v101, v98
	v_addc_co_u32_e32 v101, vcc, 0, v125, vcc
	v_add_co_u32_e32 v100, vcc, s13, v100
	v_addc_co_u32_e32 v101, vcc, 0, v101, vcc
	v_fmac_f32_e32 v193, v103, v96
	global_load_dwordx4 v[100:103], v[100:101], off offset:256
	s_waitcnt vmcnt(0)
	v_mul_f32_e32 v110, v105, v101
	v_fma_f32 v242, v104, v100, -v110
	v_mul_f32_e32 v236, v104, v101
	s_waitcnt lgkmcnt(8)
	v_mul_f32_e32 v104, v107, v103
	v_fma_f32 v243, v106, v102, -v104
	v_lshlrev_b32_e32 v104, 4, v114
	v_add_co_u32_e32 v104, vcc, s2, v104
	v_fmac_f32_e32 v236, v105, v100
	v_addc_co_u32_e32 v105, vcc, 0, v125, vcc
	v_add_co_u32_e32 v104, vcc, s13, v104
	v_mul_f32_e32 v244, v106, v103
	v_addc_co_u32_e32 v105, vcc, 0, v105, vcc
	v_fmac_f32_e32 v244, v107, v102
	global_load_dwordx4 v[104:107], v[104:105], off offset:256
	s_waitcnt vmcnt(0) lgkmcnt(7)
	v_mul_f32_e32 v110, v159, v105
	v_fma_f32 v245, v158, v104, -v110
	v_mul_f32_e32 v158, v158, v105
	v_mul_f32_e32 v110, v109, v107
	v_fmac_f32_e32 v158, v159, v104
	v_fma_f32 v159, v108, v106, -v110
	v_mul_f32_e32 v246, v108, v107
	v_lshlrev_b32_e32 v108, 4, v113
	v_add_co_u32_e32 v108, vcc, s2, v108
	v_fmac_f32_e32 v246, v109, v106
	v_addc_co_u32_e32 v109, vcc, 0, v125, vcc
	v_add_co_u32_e32 v108, vcc, s13, v108
	v_addc_co_u32_e32 v109, vcc, 0, v109, vcc
	global_load_dwordx4 v[108:111], v[108:109], off offset:256
	v_add_co_u32_e32 v112, vcc, s2, v112
	s_waitcnt vmcnt(0)
	v_mul_f32_e32 v113, v161, v109
	v_fma_f32 v247, v160, v108, -v113
	v_mul_f32_e32 v160, v160, v109
	s_waitcnt lgkmcnt(5)
	v_mul_f32_e32 v113, v174, v111
	v_fmac_f32_e32 v160, v161, v108
	v_fma_f32 v161, v173, v110, -v113
	v_addc_co_u32_e32 v113, vcc, 0, v125, vcc
	v_add_co_u32_e32 v112, vcc, s13, v112
	v_addc_co_u32_e32 v113, vcc, 0, v113, vcc
	global_load_dwordx4 v[112:115], v[112:113], off offset:256
	v_add_co_u32_e32 v116, vcc, s2, v116
	v_mul_f32_e32 v248, v173, v111
	v_fmac_f32_e32 v248, v174, v110
	s_waitcnt vmcnt(0) lgkmcnt(4)
	v_mul_f32_e32 v117, v178, v113
	v_fma_f32 v255, v177, v112, -v117
	v_mul_f32_e32 v117, v176, v115
	v_fma_f32 v250, v175, v114, -v117
	v_addc_co_u32_e32 v117, vcc, 0, v125, vcc
	v_add_co_u32_e32 v116, vcc, s13, v116
	v_addc_co_u32_e32 v117, vcc, 0, v117, vcc
	global_load_dwordx4 v[116:119], v[116:117], off offset:256
	v_add_co_u32_e32 v120, vcc, s2, v120
	v_mul_f32_e32 v251, v175, v115
	v_fmac_f32_e32 v251, v176, v114
	v_mul_f32_e32 v249, v177, v113
	v_fmac_f32_e32 v249, v178, v112
	s_waitcnt vmcnt(0)
	v_mul_f32_e32 v121, v180, v117
	v_fma_f32 v222, v179, v116, -v121
	s_waitcnt lgkmcnt(2)
	v_mul_f32_e32 v121, v182, v119
	v_fma_f32 v169, v181, v118, -v121
	v_addc_co_u32_e32 v121, vcc, 0, v125, vcc
	v_add_co_u32_e32 v120, vcc, s13, v120
	v_addc_co_u32_e32 v121, vcc, 0, v121, vcc
	global_load_dwordx4 v[120:123], v[120:121], off offset:256
	v_add_co_u32_e32 v124, vcc, s2, v124
	v_addc_co_u32_e32 v125, vcc, 0, v125, vcc
	v_add_co_u32_e32 v124, vcc, s13, v124
	v_addc_co_u32_e32 v125, vcc, 0, v125, vcc
	v_mul_f32_e32 v239, v179, v117
	v_fmac_f32_e32 v239, v180, v116
	v_mul_f32_e32 v198, v181, v119
	v_fmac_f32_e32 v198, v182, v118
	s_waitcnt vmcnt(0) lgkmcnt(1)
	v_mul_f32_e32 v126, v145, v121
	v_fma_f32 v199, v144, v120, -v126
	v_mul_f32_e32 v126, v184, v123
	v_fma_f32 v201, v183, v122, -v126
	global_load_dwordx4 v[124:127], v[124:125], off offset:256
	v_mul_f32_e32 v200, v144, v121
	v_fmac_f32_e32 v200, v145, v120
	v_add_f32_e32 v145, v150, v135
	v_fma_f32 v173, -0.5, v145, v162
	v_sub_f32_e32 v145, v134, v151
	v_mov_b32_e32 v175, v173
	v_fmac_f32_e32 v175, 0x3f5db3d7, v145
	v_fmac_f32_e32 v173, 0xbf5db3d7, v145
	v_add_f32_e32 v145, v163, v134
	v_add_f32_e32 v134, v134, v151
	v_fma_f32 v174, -0.5, v134, v163
	v_sub_f32_e32 v134, v150, v135
	v_mov_b32_e32 v176, v174
	v_fmac_f32_e32 v176, 0xbf5db3d7, v134
	v_fmac_f32_e32 v174, 0x3f5db3d7, v134
	v_add_f32_e32 v134, v164, v152
	v_add_f32_e32 v177, v134, v185
	;; [unrolled: 1-line block ×3, first 2 shown]
	v_fma_f32 v164, -0.5, v134, v164
	v_sub_f32_e32 v134, v153, v186
	v_mov_b32_e32 v179, v164
	v_fmac_f32_e32 v179, 0x3f5db3d7, v134
	v_fmac_f32_e32 v164, 0xbf5db3d7, v134
	v_add_f32_e32 v134, v165, v153
	v_add_f32_e32 v178, v134, v186
	;; [unrolled: 1-line block ×3, first 2 shown]
	v_fmac_f32_e32 v165, -0.5, v134
	v_sub_f32_e32 v134, v152, v185
	v_mov_b32_e32 v180, v165
	v_fmac_f32_e32 v180, 0xbf5db3d7, v134
	v_fmac_f32_e32 v165, 0x3f5db3d7, v134
	v_add_f32_e32 v134, v154, v187
	v_add_f32_e32 v181, v134, v190
	;; [unrolled: 1-line block ×3, first 2 shown]
	v_mul_f32_e32 v202, v183, v123
	v_fma_f32 v183, -0.5, v134, v154
	v_sub_f32_e32 v134, v189, v191
	v_mov_b32_e32 v185, v183
	v_fmac_f32_e32 v185, 0x3f5db3d7, v134
	v_fmac_f32_e32 v183, 0xbf5db3d7, v134
	v_add_f32_e32 v134, v155, v189
	v_add_f32_e32 v182, v134, v191
	;; [unrolled: 1-line block ×3, first 2 shown]
	v_fmac_f32_e32 v202, v184, v122
	v_fma_f32 v184, -0.5, v134, v155
	v_sub_f32_e32 v134, v187, v190
	v_mov_b32_e32 v186, v184
	v_fmac_f32_e32 v186, 0xbf5db3d7, v134
	v_fmac_f32_e32 v184, 0x3f5db3d7, v134
	v_add_f32_e32 v134, v156, v192
	v_add_f32_e32 v189, v134, v194
	v_add_f32_e32 v134, v192, v194
	v_fma_f32 v156, -0.5, v134, v156
	v_sub_f32_e32 v134, v193, v195
	v_mov_b32_e32 v191, v156
	v_fmac_f32_e32 v191, 0x3f5db3d7, v134
	v_fmac_f32_e32 v156, 0xbf5db3d7, v134
	v_add_f32_e32 v134, v157, v193
	v_add_f32_e32 v190, v134, v195
	;; [unrolled: 1-line block ×3, first 2 shown]
	v_fmac_f32_e32 v157, -0.5, v134
	v_sub_f32_e32 v134, v192, v194
	v_mov_b32_e32 v192, v157
	v_fmac_f32_e32 v192, 0xbf5db3d7, v134
	v_fmac_f32_e32 v157, 0x3f5db3d7, v134
	v_add_f32_e32 v134, v128, v242
	v_add_f32_e32 v193, v134, v243
	v_add_f32_e32 v134, v242, v243
	v_fma_f32 v235, -0.5, v134, v128
	v_sub_f32_e32 v128, v236, v244
	v_mov_b32_e32 v241, v235
	v_fmac_f32_e32 v241, 0x3f5db3d7, v128
	v_fmac_f32_e32 v235, 0xbf5db3d7, v128
	v_add_f32_e32 v128, v129, v236
	v_add_f32_e32 v194, v128, v244
	v_add_f32_e32 v128, v236, v244
	v_fma_f32 v236, -0.5, v128, v129
	;; [unrolled: 8-line block ×3, first 2 shown]
	v_sub_f32_e32 v128, v158, v246
	v_mov_b32_e32 v253, v130
	v_fmac_f32_e32 v253, 0x3f5db3d7, v128
	v_fmac_f32_e32 v130, 0xbf5db3d7, v128
	v_add_f32_e32 v128, v131, v158
	v_add_f32_e32 v244, v128, v246
	v_add_f32_e32 v128, v158, v246
	v_fmac_f32_e32 v131, -0.5, v128
	v_sub_f32_e32 v128, v245, v159
	v_mov_b32_e32 v254, v131
	s_waitcnt vmcnt(0)
	v_mul_f32_e32 v144, v147, v125
	v_fmac_f32_e32 v254, 0xbf5db3d7, v128
	v_fmac_f32_e32 v131, 0x3f5db3d7, v128
	v_add_f32_e32 v128, v140, v247
	v_fma_f32 v203, v146, v124, -v144
	v_mul_f32_e32 v204, v146, v125
	s_waitcnt lgkmcnt(0)
	v_mul_f32_e32 v144, v149, v127
	v_add_f32_e32 v146, v128, v161
	v_add_f32_e32 v128, v247, v161
	v_fma_f32 v205, v148, v126, -v144
	v_add_f32_e32 v144, v162, v150
	v_fma_f32 v150, -0.5, v128, v140
	v_mul_f32_e32 v206, v148, v127
	v_sub_f32_e32 v128, v160, v248
	v_mov_b32_e32 v148, v150
	v_fmac_f32_e32 v148, 0x3f5db3d7, v128
	v_fmac_f32_e32 v150, 0xbf5db3d7, v128
	v_add_f32_e32 v128, v141, v160
	v_fmac_f32_e32 v204, v147, v124
	v_add_f32_e32 v147, v128, v248
	v_add_f32_e32 v128, v160, v248
	;; [unrolled: 1-line block ×3, first 2 shown]
	v_fma_f32 v151, -0.5, v128, v141
	v_fmac_f32_e32 v206, v149, v126
	v_sub_f32_e32 v128, v247, v161
	v_mov_b32_e32 v149, v151
	v_fmac_f32_e32 v149, 0xbf5db3d7, v128
	v_fmac_f32_e32 v151, 0x3f5db3d7, v128
	v_add_f32_e32 v128, v142, v255
	v_add_f32_e32 v152, v128, v250
	;; [unrolled: 1-line block ×3, first 2 shown]
	v_fma_f32 v142, -0.5, v128, v142
	v_sub_f32_e32 v128, v249, v251
	v_mov_b32_e32 v154, v142
	v_fmac_f32_e32 v154, 0x3f5db3d7, v128
	v_fmac_f32_e32 v142, 0xbf5db3d7, v128
	v_add_f32_e32 v128, v143, v249
	v_add_f32_e32 v153, v128, v251
	;; [unrolled: 1-line block ×3, first 2 shown]
	v_fmac_f32_e32 v143, -0.5, v128
	v_sub_f32_e32 v128, v255, v250
	v_mov_b32_e32 v155, v143
	v_fmac_f32_e32 v155, 0xbf5db3d7, v128
	v_fmac_f32_e32 v143, 0x3f5db3d7, v128
	v_add_f32_e32 v128, v136, v222
	v_add_f32_e32 v158, v128, v169
	;; [unrolled: 1-line block ×3, first 2 shown]
	v_fma_f32 v136, -0.5, v128, v136
	v_sub_f32_e32 v128, v239, v198
	v_mov_b32_e32 v134, v136
	v_fmac_f32_e32 v134, 0x3f5db3d7, v128
	v_fmac_f32_e32 v136, 0xbf5db3d7, v128
	v_add_f32_e32 v128, v137, v239
	v_add_f32_e32 v159, v128, v198
	;; [unrolled: 1-line block ×3, first 2 shown]
	v_fma_f32 v137, -0.5, v128, v137
	v_add_f32_e32 v144, v144, v135
	v_sub_f32_e32 v128, v222, v169
	v_mov_b32_e32 v135, v137
	v_fmac_f32_e32 v135, 0xbf5db3d7, v128
	v_fmac_f32_e32 v137, 0x3f5db3d7, v128
	v_add_f32_e32 v128, v138, v199
	v_add_f32_e32 v160, v128, v201
	;; [unrolled: 1-line block ×3, first 2 shown]
	v_fma_f32 v138, -0.5, v128, v138
	v_sub_f32_e32 v128, v200, v202
	v_mov_b32_e32 v162, v138
	v_fmac_f32_e32 v162, 0x3f5db3d7, v128
	v_fmac_f32_e32 v138, 0xbf5db3d7, v128
	v_add_f32_e32 v128, v139, v200
	v_add_f32_e32 v161, v128, v202
	;; [unrolled: 1-line block ×3, first 2 shown]
	v_fmac_f32_e32 v139, -0.5, v128
	v_sub_f32_e32 v128, v199, v201
	v_mov_b32_e32 v163, v139
	v_fmac_f32_e32 v163, 0xbf5db3d7, v128
	v_fmac_f32_e32 v139, 0x3f5db3d7, v128
	v_add_f32_e32 v128, v132, v203
	v_add_f32_e32 v140, v128, v205
	;; [unrolled: 1-line block ×3, first 2 shown]
	v_fma_f32 v132, -0.5, v128, v132
	v_sub_f32_e32 v129, v204, v206
	v_mov_b32_e32 v128, v132
	v_fmac_f32_e32 v128, 0x3f5db3d7, v129
	v_fmac_f32_e32 v132, 0xbf5db3d7, v129
	v_add_f32_e32 v129, v133, v204
	v_add_f32_e32 v141, v129, v206
	;; [unrolled: 1-line block ×3, first 2 shown]
	v_fmac_f32_e32 v133, -0.5, v129
	v_sub_f32_e32 v169, v203, v205
	v_mov_b32_e32 v129, v133
	v_fmac_f32_e32 v129, 0xbf5db3d7, v169
	v_fmac_f32_e32 v133, 0x3f5db3d7, v169
	v_lshlrev_b32_e32 v169, 3, v215
	ds_write2_b64 v237, v[144:145], v[177:178] offset1:51
	ds_write2_b64 v170, v[173:174], v[164:165] offset0:98 offset1:149
	ds_write2_b64 v166, v[179:180], v[185:186] offset0:100 offset1:151
	;; [unrolled: 1-line block ×15, first 2 shown]
	ds_write_b64 v237, v[132:133] offset:13056
	s_waitcnt lgkmcnt(0)
	; wave barrier
	s_waitcnt lgkmcnt(0)
	global_load_dwordx2 v[156:157], v169, s[4:5]
	ds_read2_b64 v[173:176], v237 offset1:99
	v_add_co_u32_e32 v144, vcc, s4, v169
	v_mov_b32_e32 v145, s5
	v_addc_co_u32_e32 v145, vcc, 0, v145, vcc
	s_waitcnt vmcnt(0) lgkmcnt(0)
	v_mul_f32_e32 v164, v174, v157
	v_mul_f32_e32 v165, v173, v157
	v_fma_f32 v164, v173, v156, -v164
	v_fmac_f32_e32 v165, v174, v156
	global_load_dwordx2 v[156:157], v169, s[4:5] offset:792
	s_waitcnt vmcnt(0)
	v_mul_f32_e32 v173, v176, v157
	v_mul_f32_e32 v174, v175, v157
	v_fma_f32 v173, v175, v156, -v173
	v_fmac_f32_e32 v174, v176, v156
	global_load_dwordx2 v[156:157], v169, s[4:5] offset:1584
	ds_write2_b64 v237, v[164:165], v[173:174] offset1:99
	v_add_u32_e32 v173, 0x400, v237
	ds_read2_b64 v[174:177], v173 offset0:70 offset1:169
	s_waitcnt vmcnt(0) lgkmcnt(0)
	v_mul_f32_e32 v164, v175, v157
	v_mul_f32_e32 v165, v174, v157
	v_fma_f32 v164, v174, v156, -v164
	v_fmac_f32_e32 v165, v175, v156
	global_load_dwordx2 v[156:157], v169, s[4:5] offset:2376
	s_waitcnt vmcnt(0)
	v_mul_f32_e32 v174, v177, v157
	v_mul_f32_e32 v175, v176, v157
	v_fma_f32 v174, v176, v156, -v174
	v_fmac_f32_e32 v175, v177, v156
	global_load_dwordx2 v[156:157], v169, s[4:5] offset:3168
	ds_write2_b64 v173, v[164:165], v[174:175] offset0:70 offset1:169
	ds_read2_b64 v[174:177], v168 offset0:140 offset1:239
	s_waitcnt vmcnt(0) lgkmcnt(0)
	v_mul_f32_e32 v164, v175, v157
	v_mul_f32_e32 v165, v174, v157
	v_fma_f32 v164, v174, v156, -v164
	v_fmac_f32_e32 v165, v175, v156
	global_load_dwordx2 v[156:157], v169, s[4:5] offset:3960
	s_waitcnt vmcnt(0)
	v_mul_f32_e32 v169, v177, v157
	v_mul_f32_e32 v175, v176, v157
	v_fma_f32 v174, v176, v156, -v169
	v_fmac_f32_e32 v175, v177, v156
	ds_write2_b64 v168, v[164:165], v[174:175] offset0:140 offset1:239
	v_add_co_u32_e32 v164, vcc, s13, v144
	v_addc_co_u32_e32 v165, vcc, 0, v145, vcc
	global_load_dwordx2 v[156:157], v[164:165], off offset:656
	ds_read2_b64 v[174:177], v166 offset0:82 offset1:181
	s_waitcnt vmcnt(0) lgkmcnt(0)
	v_mul_f32_e32 v169, v175, v157
	v_mul_f32_e32 v179, v174, v157
	v_fma_f32 v178, v174, v156, -v169
	v_fmac_f32_e32 v179, v175, v156
	global_load_dwordx2 v[156:157], v[164:165], off offset:1448
	s_waitcnt vmcnt(0)
	v_mul_f32_e32 v169, v177, v157
	v_mul_f32_e32 v175, v176, v157
	v_fma_f32 v174, v176, v156, -v169
	v_fmac_f32_e32 v175, v177, v156
	global_load_dwordx2 v[156:157], v[164:165], off offset:2240
	ds_write2_b64 v166, v[178:179], v[174:175] offset0:82 offset1:181
	ds_read2_b64 v[174:177], v167 offset0:24 offset1:123
	s_waitcnt vmcnt(0) lgkmcnt(0)
	v_mul_f32_e32 v169, v175, v157
	v_mul_f32_e32 v179, v174, v157
	v_fma_f32 v178, v174, v156, -v169
	v_fmac_f32_e32 v179, v175, v156
	global_load_dwordx2 v[156:157], v[164:165], off offset:3032
	s_waitcnt vmcnt(0)
	v_mul_f32_e32 v169, v177, v157
	v_mul_f32_e32 v175, v176, v157
	v_fma_f32 v174, v176, v156, -v169
	v_fmac_f32_e32 v175, v177, v156
	global_load_dwordx2 v[156:157], v[164:165], off offset:3824
	ds_write2_b64 v167, v[178:179], v[174:175] offset0:24 offset1:123
	ds_read2_b64 v[174:177], v172 offset0:94 offset1:193
	s_waitcnt vmcnt(0) lgkmcnt(0)
	v_mul_f32_e32 v169, v175, v157
	v_mul_f32_e32 v179, v174, v157
	v_fma_f32 v178, v174, v156, -v169
	v_fmac_f32_e32 v179, v175, v156
	v_add_co_u32_e32 v156, vcc, s12, v144
	v_addc_co_u32_e32 v157, vcc, 0, v145, vcc
	global_load_dwordx2 v[174:175], v[156:157], off offset:520
	s_waitcnt vmcnt(0)
	v_mul_f32_e32 v169, v177, v175
	v_mul_f32_e32 v181, v176, v175
	v_fma_f32 v180, v176, v174, -v169
	v_fmac_f32_e32 v181, v177, v174
	ds_write2_b64 v172, v[178:179], v[180:181] offset0:94 offset1:193
	global_load_dwordx2 v[178:179], v[156:157], off offset:1312
	v_add_u32_e32 v180, 0x2400, v237
	ds_read2_b64 v[174:177], v180 offset0:36 offset1:135
	s_waitcnt vmcnt(0) lgkmcnt(0)
	v_mul_f32_e32 v169, v175, v179
	v_mul_f32_e32 v182, v174, v179
	v_fma_f32 v181, v174, v178, -v169
	v_fmac_f32_e32 v182, v175, v178
	global_load_dwordx2 v[174:175], v[156:157], off offset:2104
	s_waitcnt vmcnt(0)
	v_mul_f32_e32 v169, v177, v175
	v_mul_f32_e32 v179, v176, v175
	v_fma_f32 v178, v176, v174, -v169
	v_fmac_f32_e32 v179, v177, v174
	ds_write2_b64 v180, v[181:182], v[178:179] offset0:36 offset1:135
	global_load_dwordx2 v[178:179], v[156:157], off offset:2896
	ds_read2_b64 v[174:177], v188 offset0:106 offset1:205
	s_waitcnt vmcnt(0) lgkmcnt(0)
	v_mul_f32_e32 v169, v175, v179
	v_mul_f32_e32 v182, v174, v179
	v_fma_f32 v181, v174, v178, -v169
	v_fmac_f32_e32 v182, v175, v178
	global_load_dwordx2 v[174:175], v[156:157], off offset:3688
	s_waitcnt vmcnt(0)
	v_mul_f32_e32 v169, v177, v175
	v_fma_f32 v178, v176, v174, -v169
	v_mul_f32_e32 v179, v176, v175
	v_add_co_u32_e32 v176, vcc, 0x3000, v144
	v_fmac_f32_e32 v179, v177, v174
	v_addc_co_u32_e32 v177, vcc, 0, v145, vcc
	global_load_dwordx2 v[176:177], v[176:177], off offset:384
	ds_read_b64 v[174:175], v237 offset:12672
	ds_write2_b64 v188, v[181:182], v[178:179] offset0:106 offset1:205
	s_waitcnt vmcnt(0) lgkmcnt(1)
	v_mul_f32_e32 v169, v175, v177
	v_mul_f32_e32 v179, v174, v177
	v_fma_f32 v178, v174, v176, -v169
	v_fmac_f32_e32 v179, v175, v176
	ds_write_b64 v237, v[178:179] offset:12672
	s_and_saveexec_b64 s[2:3], s[0:1]
	s_cbranch_execz .LBB0_9
; %bb.8:
	global_load_dwordx2 v[178:179], v[144:145], off offset:408
	ds_read2_b64 v[174:177], v237 offset0:51 offset1:150
	s_waitcnt vmcnt(0) lgkmcnt(0)
	v_mul_f32_e32 v169, v175, v179
	v_mul_f32_e32 v182, v174, v179
	v_fma_f32 v181, v174, v178, -v169
	v_fmac_f32_e32 v182, v175, v178
	global_load_dwordx2 v[174:175], v[144:145], off offset:1200
	s_waitcnt vmcnt(0)
	v_mul_f32_e32 v169, v177, v175
	v_mul_f32_e32 v179, v176, v175
	v_fma_f32 v178, v176, v174, -v169
	v_fmac_f32_e32 v179, v177, v174
	ds_write2_b64 v237, v[181:182], v[178:179] offset0:51 offset1:150
	global_load_dwordx2 v[178:179], v[144:145], off offset:1992
	ds_read2_b64 v[174:177], v173 offset0:121 offset1:220
	s_waitcnt vmcnt(0) lgkmcnt(0)
	v_mul_f32_e32 v169, v175, v179
	v_mul_f32_e32 v182, v174, v179
	v_fma_f32 v181, v174, v178, -v169
	v_fmac_f32_e32 v182, v175, v178
	global_load_dwordx2 v[174:175], v[144:145], off offset:2784
	s_waitcnt vmcnt(0)
	v_mul_f32_e32 v169, v177, v175
	v_mul_f32_e32 v179, v176, v175
	v_fma_f32 v178, v176, v174, -v169
	v_fmac_f32_e32 v179, v177, v174
	ds_write2_b64 v173, v[181:182], v[178:179] offset0:121 offset1:220
	global_load_dwordx2 v[178:179], v[144:145], off offset:3576
	ds_read2_b64 v[174:177], v171 offset0:63 offset1:162
	v_add_co_u32_e32 v144, vcc, 0x3000, v144
	v_addc_co_u32_e32 v145, vcc, 0, v145, vcc
	global_load_dwordx2 v[144:145], v[144:145], off offset:792
	s_waitcnt vmcnt(1) lgkmcnt(0)
	v_mul_f32_e32 v169, v175, v179
	v_mul_f32_e32 v182, v174, v179
	v_fma_f32 v181, v174, v178, -v169
	v_fmac_f32_e32 v182, v175, v178
	global_load_dwordx2 v[174:175], v[164:165], off offset:272
	s_waitcnt vmcnt(0)
	v_mul_f32_e32 v169, v177, v175
	v_mul_f32_e32 v179, v176, v175
	v_fma_f32 v178, v176, v174, -v169
	v_fmac_f32_e32 v179, v177, v174
	ds_write2_b64 v171, v[181:182], v[178:179] offset0:63 offset1:162
	global_load_dwordx2 v[178:179], v[164:165], off offset:1064
	ds_read2_b64 v[174:177], v166 offset0:133 offset1:232
	s_waitcnt vmcnt(0) lgkmcnt(0)
	v_mul_f32_e32 v169, v175, v179
	v_mul_f32_e32 v182, v174, v179
	v_fma_f32 v181, v174, v178, -v169
	v_fmac_f32_e32 v182, v175, v178
	global_load_dwordx2 v[174:175], v[164:165], off offset:1856
	s_waitcnt vmcnt(0)
	v_mul_f32_e32 v169, v177, v175
	v_mul_f32_e32 v179, v176, v175
	v_fma_f32 v178, v176, v174, -v169
	v_fmac_f32_e32 v179, v177, v174
	ds_write2_b64 v166, v[181:182], v[178:179] offset0:133 offset1:232
	global_load_dwordx2 v[178:179], v[164:165], off offset:2648
	ds_read2_b64 v[174:177], v167 offset0:75 offset1:174
	global_load_dwordx2 v[164:165], v[164:165], off offset:3440
	s_waitcnt vmcnt(1) lgkmcnt(0)
	v_mul_f32_e32 v169, v175, v179
	v_mul_f32_e32 v182, v174, v179
	v_fma_f32 v181, v174, v178, -v169
	v_fmac_f32_e32 v182, v175, v178
	s_waitcnt vmcnt(0)
	v_mul_f32_e32 v169, v177, v165
	v_mul_f32_e32 v175, v176, v165
	v_fma_f32 v174, v176, v164, -v169
	v_fmac_f32_e32 v175, v177, v164
	global_load_dwordx2 v[164:165], v[156:157], off offset:136
	ds_write2_b64 v167, v[181:182], v[174:175] offset0:75 offset1:174
	ds_read2_b64 v[174:177], v170 offset0:17 offset1:116
	s_waitcnt vmcnt(0) lgkmcnt(0)
	v_mul_f32_e32 v169, v175, v165
	v_mul_f32_e32 v179, v174, v165
	v_fma_f32 v178, v174, v164, -v169
	v_fmac_f32_e32 v179, v175, v164
	global_load_dwordx2 v[164:165], v[156:157], off offset:928
	s_waitcnt vmcnt(0)
	v_mul_f32_e32 v169, v177, v165
	v_mul_f32_e32 v175, v176, v165
	v_fma_f32 v174, v176, v164, -v169
	v_fmac_f32_e32 v175, v177, v164
	global_load_dwordx2 v[164:165], v[156:157], off offset:1720
	ds_write2_b64 v170, v[178:179], v[174:175] offset0:17 offset1:116
	ds_read2_b64 v[174:177], v180 offset0:87 offset1:186
	s_waitcnt vmcnt(0) lgkmcnt(0)
	v_mul_f32_e32 v169, v175, v165
	v_mul_f32_e32 v171, v174, v165
	v_fma_f32 v170, v174, v164, -v169
	v_fmac_f32_e32 v171, v175, v164
	global_load_dwordx2 v[164:165], v[156:157], off offset:2512
	s_waitcnt vmcnt(0)
	v_mul_f32_e32 v169, v177, v165
	global_load_dwordx2 v[156:157], v[156:157], off offset:3304
	v_mul_f32_e32 v175, v176, v165
	v_fma_f32 v174, v176, v164, -v169
	v_fmac_f32_e32 v175, v177, v164
	ds_write2_b64 v180, v[170:171], v[174:175] offset0:87 offset1:186
	ds_read2_b64 v[174:177], v5 offset0:29 offset1:128
	s_waitcnt vmcnt(0) lgkmcnt(0)
	v_mul_f32_e32 v164, v175, v157
	v_mul_f32_e32 v165, v174, v157
	v_fma_f32 v164, v174, v156, -v164
	v_fmac_f32_e32 v165, v175, v156
	v_mov_b32_e32 v156, 0x3000
	v_lshl_or_b32 v156, v215, 3, v156
	global_load_dwordx2 v[156:157], v156, s[4:5]
	s_waitcnt vmcnt(0)
	v_mul_f32_e32 v169, v177, v157
	v_mul_f32_e32 v171, v176, v157
	v_fma_f32 v170, v176, v156, -v169
	v_fmac_f32_e32 v171, v177, v156
	ds_read_b64 v[156:157], v237 offset:13080
	ds_write2_b64 v5, v[164:165], v[170:171] offset0:29 offset1:128
	s_waitcnt lgkmcnt(1)
	v_mul_f32_e32 v164, v157, v145
	v_mul_f32_e32 v165, v156, v145
	v_fma_f32 v164, v156, v144, -v164
	v_fmac_f32_e32 v165, v157, v144
	ds_write_b64 v237, v[164:165] offset:13080
.LBB0_9:
	s_or_b64 exec, exec, s[2:3]
	s_waitcnt lgkmcnt(0)
	; wave barrier
	s_waitcnt lgkmcnt(0)
	ds_read2_b64 v[192:195], v237 offset1:99
	ds_read2_b64 v[184:187], v173 offset0:70 offset1:169
	ds_read2_b64 v[176:179], v168 offset0:140 offset1:239
	;; [unrolled: 1-line block ×7, first 2 shown]
	ds_read_b64 v[235:236], v237 offset:12672
	s_and_saveexec_b64 s[2:3], s[0:1]
	s_cbranch_execz .LBB0_11
; %bb.10:
	v_add_u32_e32 v128, 0x400, v237
	ds_read2_b64 v[148:151], v128 offset0:121 offset1:220
	v_add_u32_e32 v128, 0xc00, v237
	ds_read2_b64 v[152:155], v128 offset0:63 offset1:162
	;; [unrolled: 2-line block ×4, first 2 shown]
	ds_read2_b64 v[134:137], v128 offset0:75 offset1:174
	v_add_u32_e32 v128, 0x2400, v237
	ds_read2_b64 v[138:141], v128 offset0:87 offset1:186
	v_add_u32_e32 v128, 0x2c00, v237
	v_add_u32_e32 v132, 0x2000, v237
	ds_read2_b64 v[128:131], v128 offset0:29 offset1:128
	ds_read2_b64 v[160:163], v132 offset0:17 offset1:116
	ds_read_b64 v[218:219], v237 offset:13080
	s_waitcnt lgkmcnt(6)
	v_mov_b32_e32 v142, v156
	v_mov_b32_e32 v143, v157
	s_waitcnt lgkmcnt(2)
	v_mov_b32_e32 v132, v130
	v_mov_b32_e32 v133, v131
	;; [unrolled: 1-line block ×4, first 2 shown]
.LBB0_11:
	s_or_b64 exec, exec, s[2:3]
	s_waitcnt lgkmcnt(8)
	v_add_f32_e32 v144, v192, v194
	v_add_f32_e32 v145, v193, v195
	s_waitcnt lgkmcnt(7)
	v_add_f32_e32 v144, v144, v184
	v_add_f32_e32 v145, v145, v185
	v_add_f32_e32 v144, v144, v186
	v_add_f32_e32 v145, v145, v187
	s_waitcnt lgkmcnt(6)
	v_add_f32_e32 v144, v144, v176
	v_add_f32_e32 v145, v145, v177
	;; [unrolled: 5-line block ×7, first 2 shown]
	s_waitcnt lgkmcnt(0)
	v_add_f32_e32 v157, v236, v195
	v_add_f32_e32 v144, v144, v190
	;; [unrolled: 1-line block ×3, first 2 shown]
	v_sub_f32_e32 v195, v195, v236
	v_mul_f32_e32 v200, 0x3f6eb680, v157
	v_mul_f32_e32 v204, 0x3f3d2fb0, v157
	;; [unrolled: 1-line block ×8, first 2 shown]
	v_add_f32_e32 v144, v144, v235
	v_add_f32_e32 v145, v145, v236
	;; [unrolled: 1-line block ×3, first 2 shown]
	v_sub_f32_e32 v194, v194, v235
	v_mul_f32_e32 v198, 0xbeb8f4ab, v195
	v_mov_b32_e32 v201, v200
	v_mul_f32_e32 v202, 0xbf2c7751, v195
	v_mov_b32_e32 v205, v204
	;; [unrolled: 2-line block ×8, first 2 shown]
	s_mov_b32 s4, 0x3f6eb680
	v_mov_b32_e32 v199, v198
	v_fmac_f32_e32 v201, 0x3eb8f4ab, v194
	v_fmac_f32_e32 v200, 0xbeb8f4ab, v194
	s_mov_b32 s5, 0x3f3d2fb0
	v_mov_b32_e32 v203, v202
	v_fmac_f32_e32 v205, 0x3f2c7751, v194
	v_fmac_f32_e32 v204, 0xbf2c7751, v194
	;; [unrolled: 4-line block ×8, first 2 shown]
	v_fmac_f32_e32 v199, 0x3f6eb680, v156
	v_add_f32_e32 v201, v193, v201
	v_fma_f32 v198, v156, s4, -v198
	v_add_f32_e32 v200, v193, v200
	v_fmac_f32_e32 v203, 0x3f3d2fb0, v156
	v_add_f32_e32 v205, v193, v205
	v_fma_f32 v202, v156, s5, -v202
	v_add_f32_e32 v204, v193, v204
	v_fmac_f32_e32 v207, 0x3ee437d1, v156
	v_add_f32_e32 v235, v193, v235
	v_fma_f32 v206, v156, s12, -v206
	v_add_f32_e32 v222, v193, v222
	v_fmac_f32_e32 v239, 0x3dbcf732, v156
	v_add_f32_e32 v242, v193, v242
	v_fma_f32 v236, v156, s13, -v236
	v_add_f32_e32 v241, v193, v241
	v_fmac_f32_e32 v244, 0xbe8c1d8e, v156
	v_add_f32_e32 v246, v193, v246
	v_fma_f32 v243, v156, s16, -v243
	v_add_f32_e32 v245, v193, v245
	v_fmac_f32_e32 v248, 0xbf1a4643, v156
	v_add_f32_e32 v250, v193, v250
	v_fma_f32 v247, v156, s17, -v247
	v_add_f32_e32 v249, v193, v249
	v_fmac_f32_e32 v253, 0xbf59a7d5, v156
	v_add_f32_e32 v255, v193, v255
	v_fma_f32 v251, v156, s18, -v251
	v_add_f32_e32 v254, v193, v254
	v_fmac_f32_e32 v195, 0xbf7ba420, v156
	v_add_f32_e32 v209, v193, v209
	v_fma_f32 v156, v156, s19, -v208
	v_add_f32_e32 v157, v193, v157
	v_add_f32_e32 v193, v191, v185
	v_sub_f32_e32 v185, v185, v191
	v_add_f32_e32 v199, v192, v199
	v_add_f32_e32 v198, v192, v198
	;; [unrolled: 1-line block ×17, first 2 shown]
	v_sub_f32_e32 v184, v184, v190
	v_mul_f32_e32 v190, 0xbf2c7751, v185
	v_mov_b32_e32 v191, v190
	v_fmac_f32_e32 v191, 0x3f3d2fb0, v192
	v_mul_f32_e32 v194, 0x3f3d2fb0, v193
	v_fma_f32 v190, v192, s5, -v190
	v_add_f32_e32 v191, v191, v199
	v_mov_b32_e32 v199, v194
	v_add_f32_e32 v190, v190, v198
	v_fmac_f32_e32 v194, 0xbf2c7751, v184
	v_mul_f32_e32 v198, 0xbf7ee86f, v185
	v_fmac_f32_e32 v199, 0x3f2c7751, v184
	v_add_f32_e32 v194, v194, v200
	v_mov_b32_e32 v200, v198
	v_add_f32_e32 v199, v199, v201
	v_fmac_f32_e32 v200, 0x3dbcf732, v192
	v_mul_f32_e32 v201, 0x3dbcf732, v193
	v_fma_f32 v198, v192, s13, -v198
	v_add_f32_e32 v200, v200, v203
	v_mov_b32_e32 v203, v201
	v_add_f32_e32 v198, v198, v202
	v_fmac_f32_e32 v201, 0xbf7ee86f, v184
	v_mul_f32_e32 v202, 0xbf4c4adb, v185
	v_add_f32_e32 v201, v201, v204
	v_mov_b32_e32 v204, v202
	v_fma_f32 v202, v192, s17, -v202
	v_fmac_f32_e32 v203, 0x3f7ee86f, v184
	v_add_f32_e32 v202, v202, v206
	v_mul_f32_e32 v206, 0xbe3c28d5, v185
	v_add_f32_e32 v203, v203, v205
	v_fmac_f32_e32 v204, 0xbf1a4643, v192
	v_mul_f32_e32 v205, 0xbf1a4643, v193
	v_mov_b32_e32 v208, v206
	v_fma_f32 v206, v192, s19, -v206
	v_add_f32_e32 v204, v204, v207
	v_mov_b32_e32 v207, v205
	v_fmac_f32_e32 v205, 0xbf4c4adb, v184
	v_fmac_f32_e32 v208, 0xbf7ba420, v192
	v_add_f32_e32 v206, v206, v236
	v_mul_f32_e32 v236, 0x3f06c442, v185
	v_fmac_f32_e32 v207, 0x3f4c4adb, v184
	v_add_f32_e32 v205, v205, v222
	v_add_f32_e32 v208, v208, v239
	v_mul_f32_e32 v222, 0xbf7ba420, v193
	v_mov_b32_e32 v239, v236
	v_fma_f32 v236, v192, s18, -v236
	v_add_f32_e32 v207, v207, v235
	v_mov_b32_e32 v235, v222
	v_fmac_f32_e32 v222, 0xbe3c28d5, v184
	v_fmac_f32_e32 v239, 0xbf59a7d5, v192
	v_add_f32_e32 v236, v236, v243
	v_mul_f32_e32 v243, 0x3f763a35, v185
	v_fmac_f32_e32 v235, 0x3e3c28d5, v184
	v_add_f32_e32 v222, v222, v241
	v_add_f32_e32 v239, v239, v244
	;; [unrolled: 12-line block ×3, first 2 shown]
	v_mul_f32_e32 v245, 0xbe8c1d8e, v193
	v_mov_b32_e32 v248, v247
	v_fma_f32 v247, v192, s12, -v247
	v_mul_f32_e32 v185, 0x3eb8f4ab, v185
	v_add_f32_e32 v242, v242, v246
	v_mov_b32_e32 v246, v245
	v_fmac_f32_e32 v245, 0x3f763a35, v184
	v_add_f32_e32 v247, v247, v251
	v_mov_b32_e32 v251, v185
	v_fmac_f32_e32 v246, 0xbf763a35, v184
	v_add_f32_e32 v245, v245, v249
	v_mul_f32_e32 v249, 0x3ee437d1, v193
	v_fmac_f32_e32 v251, 0x3f6eb680, v192
	v_mul_f32_e32 v193, 0x3f6eb680, v193
	v_fma_f32 v185, v192, s4, -v185
	v_add_f32_e32 v246, v246, v250
	v_mov_b32_e32 v250, v249
	v_add_f32_e32 v195, v251, v195
	v_mov_b32_e32 v251, v193
	v_add_f32_e32 v156, v185, v156
	v_add_f32_e32 v185, v189, v187
	v_sub_f32_e32 v187, v187, v189
	v_fmac_f32_e32 v250, 0xbf65296c, v184
	v_fmac_f32_e32 v249, 0x3f65296c, v184
	;; [unrolled: 1-line block ×4, first 2 shown]
	v_add_f32_e32 v184, v188, v186
	v_sub_f32_e32 v186, v186, v188
	v_mul_f32_e32 v188, 0xbf65296c, v187
	v_mov_b32_e32 v189, v188
	v_fmac_f32_e32 v189, 0x3ee437d1, v184
	v_add_f32_e32 v189, v189, v191
	v_mul_f32_e32 v191, 0x3ee437d1, v185
	v_fmac_f32_e32 v248, 0x3ee437d1, v192
	v_mov_b32_e32 v192, v191
	v_fma_f32 v188, v184, s12, -v188
	v_fmac_f32_e32 v191, 0xbf65296c, v186
	v_add_f32_e32 v188, v188, v190
	v_add_f32_e32 v190, v191, v194
	v_mul_f32_e32 v191, 0xbf4c4adb, v187
	v_add_f32_e32 v157, v193, v157
	v_mov_b32_e32 v193, v191
	v_fma_f32 v191, v184, s17, -v191
	v_fmac_f32_e32 v193, 0xbf1a4643, v184
	v_add_f32_e32 v191, v191, v198
	v_mul_f32_e32 v198, 0x3e3c28d5, v187
	v_fmac_f32_e32 v192, 0x3f65296c, v186
	v_add_f32_e32 v193, v193, v200
	v_mul_f32_e32 v194, 0xbf1a4643, v185
	v_mov_b32_e32 v200, v198
	v_fma_f32 v198, v184, s19, -v198
	v_add_f32_e32 v192, v192, v199
	v_mov_b32_e32 v199, v194
	v_fmac_f32_e32 v194, 0xbf4c4adb, v186
	v_fmac_f32_e32 v200, 0xbf7ba420, v184
	v_add_f32_e32 v198, v198, v202
	v_mul_f32_e32 v202, 0x3f763a35, v187
	v_fmac_f32_e32 v199, 0x3f4c4adb, v186
	v_add_f32_e32 v194, v194, v201
	v_add_f32_e32 v200, v200, v204
	v_mul_f32_e32 v201, 0xbf7ba420, v185
	v_mov_b32_e32 v204, v202
	v_fma_f32 v202, v184, s16, -v202
	v_add_f32_e32 v199, v199, v203
	v_mov_b32_e32 v203, v201
	v_fmac_f32_e32 v201, 0x3e3c28d5, v186
	v_fmac_f32_e32 v204, 0xbe8c1d8e, v184
	v_add_f32_e32 v202, v202, v206
	v_mul_f32_e32 v206, 0x3f2c7751, v187
	v_fmac_f32_e32 v203, 0xbe3c28d5, v186
	v_add_f32_e32 v201, v201, v205
	;; [unrolled: 12-line block ×4, first 2 shown]
	v_add_f32_e32 v239, v239, v244
	v_mul_f32_e32 v241, 0x3f6eb680, v185
	v_mov_b32_e32 v244, v243
	v_fma_f32 v243, v184, s13, -v243
	v_mul_f32_e32 v187, 0xbf06c442, v187
	v_add_f32_e32 v235, v235, v242
	v_mov_b32_e32 v242, v241
	v_fmac_f32_e32 v241, 0xbeb8f4ab, v186
	v_add_f32_e32 v243, v243, v247
	v_mov_b32_e32 v247, v187
	v_add_f32_e32 v241, v241, v245
	v_mul_f32_e32 v245, 0x3dbcf732, v185
	v_fmac_f32_e32 v247, 0xbf59a7d5, v184
	v_mul_f32_e32 v185, 0xbf59a7d5, v185
	v_add_f32_e32 v195, v247, v195
	v_mov_b32_e32 v247, v185
	v_fmac_f32_e32 v185, 0xbf06c442, v186
	v_fmac_f32_e32 v244, 0x3dbcf732, v184
	v_fma_f32 v184, v184, s18, -v187
	v_add_f32_e32 v157, v185, v157
	v_add_f32_e32 v185, v183, v177
	v_sub_f32_e32 v177, v177, v183
	v_add_f32_e32 v156, v184, v156
	v_add_f32_e32 v184, v182, v176
	v_sub_f32_e32 v176, v176, v182
	v_mul_f32_e32 v182, 0xbf7ee86f, v177
	v_fmac_f32_e32 v242, 0x3eb8f4ab, v186
	v_mov_b32_e32 v183, v182
	v_fma_f32 v182, v184, s13, -v182
	v_add_f32_e32 v242, v242, v246
	v_mov_b32_e32 v246, v245
	v_fmac_f32_e32 v183, 0x3dbcf732, v184
	v_add_f32_e32 v182, v182, v188
	v_mul_f32_e32 v188, 0xbe3c28d5, v177
	v_fmac_f32_e32 v246, 0x3f7ee86f, v186
	v_fmac_f32_e32 v245, 0xbf7ee86f, v186
	;; [unrolled: 1-line block ×3, first 2 shown]
	v_add_f32_e32 v183, v183, v189
	v_mul_f32_e32 v186, 0x3dbcf732, v185
	v_mov_b32_e32 v189, v188
	v_fma_f32 v188, v184, s19, -v188
	v_mov_b32_e32 v187, v186
	v_fmac_f32_e32 v186, 0xbf7ee86f, v176
	v_fmac_f32_e32 v189, 0xbf7ba420, v184
	v_add_f32_e32 v188, v188, v191
	v_mul_f32_e32 v191, 0x3f763a35, v177
	v_fmac_f32_e32 v187, 0x3f7ee86f, v176
	v_add_f32_e32 v186, v186, v190
	v_add_f32_e32 v189, v189, v193
	v_mul_f32_e32 v190, 0xbf7ba420, v185
	v_mov_b32_e32 v193, v191
	v_fma_f32 v191, v184, s16, -v191
	v_add_f32_e32 v187, v187, v192
	v_mov_b32_e32 v192, v190
	v_fmac_f32_e32 v190, 0xbe3c28d5, v176
	v_fmac_f32_e32 v193, 0xbe8c1d8e, v184
	v_add_f32_e32 v191, v191, v198
	v_mul_f32_e32 v198, 0x3eb8f4ab, v177
	v_fmac_f32_e32 v192, 0x3e3c28d5, v176
	v_add_f32_e32 v190, v190, v194
	v_add_f32_e32 v193, v193, v200
	v_mul_f32_e32 v194, 0xbe8c1d8e, v185
	v_mov_b32_e32 v200, v198
	v_fma_f32 v198, v184, s4, -v198
	v_add_f32_e32 v192, v192, v199
	;; [unrolled: 12-line block ×4, first 2 shown]
	v_mov_b32_e32 v207, v205
	v_fmac_f32_e32 v205, 0xbf65296c, v176
	v_fmac_f32_e32 v208, 0xbf59a7d5, v184
	v_add_f32_e32 v206, v206, v236
	v_mul_f32_e32 v236, 0x3f4c4adb, v177
	v_fmac_f32_e32 v207, 0x3f65296c, v176
	v_add_f32_e32 v205, v205, v222
	v_add_f32_e32 v208, v208, v239
	v_mul_f32_e32 v222, 0xbf59a7d5, v185
	v_mov_b32_e32 v239, v236
	v_fma_f32 v236, v184, s17, -v236
	v_mul_f32_e32 v177, 0x3f2c7751, v177
	v_add_f32_e32 v207, v207, v235
	v_mov_b32_e32 v235, v222
	v_fmac_f32_e32 v222, 0xbf06c442, v176
	v_add_f32_e32 v236, v236, v243
	v_mov_b32_e32 v243, v177
	v_fmac_f32_e32 v235, 0x3f06c442, v176
	v_add_f32_e32 v222, v222, v241
	v_mul_f32_e32 v241, 0xbf1a4643, v185
	v_fmac_f32_e32 v243, 0x3f3d2fb0, v184
	v_mul_f32_e32 v185, 0x3f3d2fb0, v185
	v_fma_f32 v177, v184, s5, -v177
	v_add_f32_e32 v235, v235, v242
	v_mov_b32_e32 v242, v241
	v_add_f32_e32 v195, v243, v195
	v_mov_b32_e32 v243, v185
	v_add_f32_e32 v156, v177, v156
	v_add_f32_e32 v177, v181, v179
	v_sub_f32_e32 v179, v179, v181
	v_fmac_f32_e32 v242, 0xbf4c4adb, v176
	v_fmac_f32_e32 v241, 0x3f4c4adb, v176
	;; [unrolled: 1-line block ×4, first 2 shown]
	v_add_f32_e32 v176, v180, v178
	v_sub_f32_e32 v178, v178, v180
	v_mul_f32_e32 v180, 0xbf763a35, v179
	v_mov_b32_e32 v181, v180
	v_fmac_f32_e32 v181, 0xbe8c1d8e, v176
	v_add_f32_e32 v181, v181, v183
	v_mul_f32_e32 v183, 0xbe8c1d8e, v177
	v_fmac_f32_e32 v239, 0xbf1a4643, v184
	v_mov_b32_e32 v184, v183
	v_fma_f32 v180, v176, s16, -v180
	v_fmac_f32_e32 v183, 0xbf763a35, v178
	v_add_f32_e32 v180, v180, v182
	v_add_f32_e32 v182, v183, v186
	v_mul_f32_e32 v183, 0x3f06c442, v179
	v_add_f32_e32 v157, v185, v157
	v_mov_b32_e32 v185, v183
	v_fma_f32 v183, v176, s18, -v183
	v_fmac_f32_e32 v185, 0xbf59a7d5, v176
	v_add_f32_e32 v183, v183, v188
	v_mul_f32_e32 v188, 0x3f2c7751, v179
	v_fmac_f32_e32 v184, 0x3f763a35, v178
	v_add_f32_e32 v185, v185, v189
	v_mul_f32_e32 v186, 0xbf59a7d5, v177
	v_mov_b32_e32 v189, v188
	v_fma_f32 v188, v176, s5, -v188
	v_add_f32_e32 v184, v184, v187
	v_mov_b32_e32 v187, v186
	v_fmac_f32_e32 v186, 0x3f06c442, v178
	v_fmac_f32_e32 v189, 0x3f3d2fb0, v176
	v_add_f32_e32 v188, v188, v191
	v_mul_f32_e32 v191, 0xbf65296c, v179
	v_fmac_f32_e32 v187, 0xbf06c442, v178
	v_add_f32_e32 v186, v186, v190
	v_add_f32_e32 v189, v189, v193
	v_mul_f32_e32 v190, 0x3f3d2fb0, v177
	v_mov_b32_e32 v193, v191
	v_fma_f32 v191, v176, s12, -v191
	v_add_f32_e32 v187, v187, v192
	v_mov_b32_e32 v192, v190
	v_fmac_f32_e32 v190, 0x3f2c7751, v178
	v_fmac_f32_e32 v193, 0x3ee437d1, v176
	v_add_f32_e32 v191, v191, v198
	v_mul_f32_e32 v198, 0xbe3c28d5, v179
	v_fmac_f32_e32 v192, 0xbf2c7751, v178
	v_add_f32_e32 v190, v190, v194
	;; [unrolled: 12-line block ×4, first 2 shown]
	v_add_f32_e32 v204, v204, v208
	v_mul_f32_e32 v205, 0x3dbcf732, v177
	v_mov_b32_e32 v208, v206
	v_fma_f32 v206, v176, s4, -v206
	v_mul_f32_e32 v179, 0xbf4c4adb, v179
	v_add_f32_e32 v203, v203, v207
	v_mov_b32_e32 v207, v205
	v_fmac_f32_e32 v205, 0x3f7ee86f, v178
	v_add_f32_e32 v206, v206, v236
	v_mov_b32_e32 v236, v179
	v_add_f32_e32 v205, v205, v222
	v_mul_f32_e32 v222, 0x3f6eb680, v177
	v_fmac_f32_e32 v236, 0xbf1a4643, v176
	v_mul_f32_e32 v177, 0xbf1a4643, v177
	v_add_f32_e32 v195, v236, v195
	v_mov_b32_e32 v236, v177
	v_fmac_f32_e32 v177, 0xbf4c4adb, v178
	v_fmac_f32_e32 v208, 0x3f6eb680, v176
	v_fma_f32 v176, v176, s17, -v179
	v_add_f32_e32 v157, v177, v157
	v_add_f32_e32 v177, v175, v169
	v_sub_f32_e32 v169, v169, v175
	v_add_f32_e32 v156, v176, v156
	v_add_f32_e32 v176, v174, v168
	v_sub_f32_e32 v168, v168, v174
	v_mul_f32_e32 v174, 0xbf4c4adb, v169
	v_fmac_f32_e32 v207, 0xbf7ee86f, v178
	v_mov_b32_e32 v175, v174
	v_fma_f32 v174, v176, s17, -v174
	v_add_f32_e32 v207, v207, v235
	v_mov_b32_e32 v235, v222
	v_fmac_f32_e32 v175, 0xbf1a4643, v176
	v_add_f32_e32 v174, v174, v180
	v_mul_f32_e32 v180, 0x3f763a35, v169
	v_fmac_f32_e32 v235, 0x3eb8f4ab, v178
	v_fmac_f32_e32 v222, 0xbeb8f4ab, v178
	;; [unrolled: 1-line block ×3, first 2 shown]
	v_add_f32_e32 v175, v175, v181
	v_mul_f32_e32 v178, 0xbf1a4643, v177
	v_mov_b32_e32 v181, v180
	v_fma_f32 v180, v176, s16, -v180
	v_mov_b32_e32 v179, v178
	v_fmac_f32_e32 v178, 0xbf4c4adb, v168
	v_fmac_f32_e32 v181, 0xbe8c1d8e, v176
	v_add_f32_e32 v180, v180, v183
	v_mul_f32_e32 v183, 0xbeb8f4ab, v169
	v_fmac_f32_e32 v179, 0x3f4c4adb, v168
	v_add_f32_e32 v178, v178, v182
	v_add_f32_e32 v181, v181, v185
	v_mul_f32_e32 v182, 0xbe8c1d8e, v177
	v_mov_b32_e32 v185, v183
	v_fma_f32 v183, v176, s4, -v183
	v_add_f32_e32 v179, v179, v184
	v_mov_b32_e32 v184, v182
	v_fmac_f32_e32 v182, 0x3f763a35, v168
	v_fmac_f32_e32 v185, 0x3f6eb680, v176
	v_add_f32_e32 v183, v183, v188
	v_mul_f32_e32 v188, 0xbf06c442, v169
	v_fmac_f32_e32 v184, 0xbf763a35, v168
	v_add_f32_e32 v182, v182, v186
	v_add_f32_e32 v185, v185, v189
	v_mul_f32_e32 v186, 0x3f6eb680, v177
	v_mov_b32_e32 v189, v188
	v_fma_f32 v188, v176, s18, -v188
	v_add_f32_e32 v184, v184, v187
	;; [unrolled: 12-line block ×4, first 2 shown]
	v_mov_b32_e32 v199, v194
	v_fmac_f32_e32 v194, 0x3f7ee86f, v168
	v_fmac_f32_e32 v200, 0x3f3d2fb0, v176
	v_add_f32_e32 v198, v198, v202
	v_mul_f32_e32 v202, 0xbe3c28d5, v169
	v_fmac_f32_e32 v199, 0xbf7ee86f, v168
	v_add_f32_e32 v194, v194, v201
	v_add_f32_e32 v200, v200, v204
	v_mul_f32_e32 v201, 0x3f3d2fb0, v177
	v_mov_b32_e32 v204, v202
	v_fma_f32 v202, v176, s19, -v202
	v_mul_f32_e32 v169, 0x3f65296c, v169
	v_add_f32_e32 v199, v199, v203
	v_mov_b32_e32 v203, v201
	v_fmac_f32_e32 v201, 0xbf2c7751, v168
	v_add_f32_e32 v202, v202, v206
	v_mov_b32_e32 v206, v169
	v_fmac_f32_e32 v203, 0x3f2c7751, v168
	v_add_f32_e32 v201, v201, v205
	v_mul_f32_e32 v205, 0xbf7ba420, v177
	v_fmac_f32_e32 v206, 0x3ee437d1, v176
	v_mul_f32_e32 v177, 0x3ee437d1, v177
	v_fma_f32 v169, v176, s12, -v169
	v_add_f32_e32 v203, v203, v207
	v_mov_b32_e32 v207, v205
	v_add_f32_e32 v195, v206, v195
	v_mov_b32_e32 v206, v177
	v_add_f32_e32 v156, v169, v156
	v_add_f32_e32 v169, v173, v171
	v_sub_f32_e32 v171, v171, v173
	v_fmac_f32_e32 v207, 0x3e3c28d5, v168
	v_fmac_f32_e32 v205, 0xbe3c28d5, v168
	;; [unrolled: 1-line block ×4, first 2 shown]
	v_add_f32_e32 v168, v172, v170
	v_sub_f32_e32 v170, v170, v172
	v_mul_f32_e32 v172, 0xbf06c442, v171
	v_mov_b32_e32 v173, v172
	v_fmac_f32_e32 v173, 0xbf59a7d5, v168
	v_add_f32_e32 v173, v173, v175
	v_mul_f32_e32 v175, 0xbf59a7d5, v169
	v_fmac_f32_e32 v204, 0xbf7ba420, v176
	v_mov_b32_e32 v176, v175
	v_fma_f32 v172, v168, s18, -v172
	v_fmac_f32_e32 v175, 0xbf06c442, v170
	v_add_f32_e32 v172, v172, v174
	v_add_f32_e32 v174, v175, v178
	v_mul_f32_e32 v175, 0x3f65296c, v171
	v_add_f32_e32 v157, v177, v157
	v_mov_b32_e32 v177, v175
	v_fma_f32 v175, v168, s12, -v175
	v_fmac_f32_e32 v177, 0x3ee437d1, v168
	v_add_f32_e32 v175, v175, v180
	v_mul_f32_e32 v180, 0xbf7ee86f, v171
	v_fmac_f32_e32 v176, 0x3f06c442, v170
	v_add_f32_e32 v177, v177, v181
	v_mul_f32_e32 v178, 0x3ee437d1, v169
	v_mov_b32_e32 v181, v180
	v_fma_f32 v180, v168, s13, -v180
	v_add_f32_e32 v176, v176, v179
	v_mov_b32_e32 v179, v178
	v_fmac_f32_e32 v178, 0x3f65296c, v170
	v_fmac_f32_e32 v181, 0x3dbcf732, v168
	v_add_f32_e32 v180, v180, v183
	v_mul_f32_e32 v183, 0x3f4c4adb, v171
	v_fmac_f32_e32 v179, 0xbf65296c, v170
	v_add_f32_e32 v178, v178, v182
	v_add_f32_e32 v181, v181, v185
	v_mul_f32_e32 v182, 0x3dbcf732, v169
	v_mov_b32_e32 v185, v183
	v_fma_f32 v183, v168, s17, -v183
	v_add_f32_e32 v179, v179, v184
	v_mov_b32_e32 v184, v182
	v_fmac_f32_e32 v182, 0xbf7ee86f, v170
	v_fmac_f32_e32 v185, 0xbf1a4643, v168
	v_add_f32_e32 v183, v183, v188
	v_mul_f32_e32 v188, 0xbeb8f4ab, v171
	v_fmac_f32_e32 v184, 0x3f7ee86f, v170
	v_add_f32_e32 v182, v182, v186
	;; [unrolled: 12-line block ×3, first 2 shown]
	v_add_f32_e32 v189, v189, v193
	v_mul_f32_e32 v190, 0x3f6eb680, v169
	v_mov_b32_e32 v193, v191
	v_fma_f32 v191, v168, s19, -v191
	v_add_f32_e32 v187, v187, v192
	v_mov_b32_e32 v192, v190
	v_fmac_f32_e32 v190, 0xbeb8f4ab, v170
	v_fmac_f32_e32 v193, 0xbf7ba420, v168
	v_add_f32_e32 v191, v191, v198
	v_mul_f32_e32 v198, 0x3f2c7751, v171
	v_add_f32_e32 v209, v251, v209
	v_fmac_f32_e32 v192, 0x3eb8f4ab, v170
	v_add_f32_e32 v190, v190, v194
	v_add_f32_e32 v193, v193, v200
	v_mul_f32_e32 v194, 0xbf7ba420, v169
	v_mov_b32_e32 v200, v198
	v_fma_f32 v198, v168, s5, -v198
	v_mul_f32_e32 v171, 0xbf763a35, v171
	v_add_f32_e32 v248, v248, v253
	v_add_f32_e32 v209, v247, v209
	;; [unrolled: 1-line block ×3, first 2 shown]
	v_mov_b32_e32 v199, v194
	v_fmac_f32_e32 v194, 0xbe3c28d5, v170
	v_add_f32_e32 v198, v198, v202
	v_mov_b32_e32 v202, v171
	v_add_f32_e32 v250, v250, v255
	v_add_f32_e32 v244, v244, v248
	;; [unrolled: 1-line block ×4, first 2 shown]
	v_mul_f32_e32 v201, 0x3f3d2fb0, v169
	v_fmac_f32_e32 v202, 0xbe8c1d8e, v168
	v_mul_f32_e32 v169, 0xbe8c1d8e, v169
	v_add_f32_e32 v246, v246, v250
	v_add_f32_e32 v239, v239, v244
	;; [unrolled: 1-line block ×4, first 2 shown]
	v_mov_b32_e32 v202, v169
	v_add_f32_e32 v249, v249, v254
	v_add_f32_e32 v242, v242, v246
	;; [unrolled: 1-line block ×4, first 2 shown]
	v_fmac_f32_e32 v199, 0x3e3c28d5, v170
	v_fmac_f32_e32 v202, 0x3f763a35, v170
	v_sub_f32_e32 v209, v165, v167
	v_add_f32_e32 v245, v245, v249
	v_add_f32_e32 v235, v235, v242
	;; [unrolled: 1-line block ×4, first 2 shown]
	v_fmac_f32_e32 v200, 0x3f3d2fb0, v168
	v_mov_b32_e32 v203, v201
	v_add_f32_e32 v202, v202, v206
	v_fma_f32 v168, v168, s16, -v171
	v_add_f32_e32 v206, v166, v164
	v_sub_f32_e32 v208, v164, v166
	v_mul_f32_e32 v164, 0xbe3c28d5, v209
	v_add_f32_e32 v241, v241, v245
	v_add_f32_e32 v207, v207, v235
	v_add_f32_e32 v200, v200, v204
	v_fmac_f32_e32 v203, 0xbf2c7751, v170
	v_add_f32_e32 v204, v168, v156
	v_mov_b32_e32 v156, v164
	v_add_f32_e32 v222, v222, v241
	v_add_f32_e32 v203, v203, v207
	;; [unrolled: 1-line block ×3, first 2 shown]
	v_fmac_f32_e32 v156, 0xbf7ba420, v206
	v_fma_f32 v164, v206, s19, -v164
	v_add_f32_e32 v205, v205, v222
	v_fmac_f32_e32 v201, 0x3f2c7751, v170
	v_fmac_f32_e32 v169, 0xbf763a35, v170
	v_add_f32_e32 v156, v156, v173
	v_mul_f32_e32 v165, 0xbf7ba420, v207
	v_add_f32_e32 v164, v164, v172
	v_mul_f32_e32 v172, 0xbf06c442, v209
	v_mul_f32_e32 v173, 0xbf59a7d5, v207
	v_add_f32_e32 v201, v201, v205
	v_add_f32_e32 v205, v169, v157
	v_mov_b32_e32 v157, v165
	v_mul_f32_e32 v168, 0x3eb8f4ab, v209
	v_mul_f32_e32 v169, 0x3f6eb680, v207
	v_mov_b32_e32 v170, v172
	v_mov_b32_e32 v171, v173
	v_fmac_f32_e32 v157, 0x3e3c28d5, v208
	v_mov_b32_e32 v166, v168
	v_mov_b32_e32 v167, v169
	v_fmac_f32_e32 v170, 0xbf59a7d5, v206
	v_fmac_f32_e32 v171, 0x3f06c442, v208
	v_fma_f32 v172, v206, s18, -v172
	v_add_f32_e32 v157, v157, v176
	v_fmac_f32_e32 v165, 0xbe3c28d5, v208
	v_fmac_f32_e32 v166, 0x3f6eb680, v206
	;; [unrolled: 1-line block ×4, first 2 shown]
	v_add_f32_e32 v170, v170, v181
	v_add_f32_e32 v171, v171, v184
	v_add_f32_e32 v172, v172, v180
	v_fmac_f32_e32 v173, 0xbf06c442, v208
	v_mul_f32_e32 v176, 0x3f2c7751, v209
	v_mul_f32_e32 v180, 0xbf4c4adb, v209
	;; [unrolled: 1-line block ×4, first 2 shown]
	v_add_f32_e32 v165, v165, v174
	v_add_f32_e32 v166, v166, v177
	;; [unrolled: 1-line block ×3, first 2 shown]
	v_fma_f32 v168, v206, s4, -v168
	v_add_f32_e32 v169, v169, v178
	v_add_f32_e32 v173, v173, v182
	v_mov_b32_e32 v174, v176
	v_mul_f32_e32 v177, 0x3f3d2fb0, v207
	v_mov_b32_e32 v178, v180
	v_mov_b32_e32 v179, v181
	;; [unrolled: 1-line block ×3, first 2 shown]
	v_add_f32_e32 v168, v168, v175
	v_fmac_f32_e32 v174, 0x3f3d2fb0, v206
	v_mov_b32_e32 v175, v177
	v_fmac_f32_e32 v178, 0xbf1a4643, v206
	v_fmac_f32_e32 v179, 0x3f4c4adb, v208
	v_fma_f32 v180, v206, s17, -v180
	v_fmac_f32_e32 v182, 0x3ee437d1, v206
	v_add_f32_e32 v174, v174, v185
	v_fmac_f32_e32 v175, 0xbf2c7751, v208
	v_fma_f32 v176, v206, s5, -v176
	v_fmac_f32_e32 v177, 0x3f2c7751, v208
	v_add_f32_e32 v178, v178, v189
	v_add_f32_e32 v179, v179, v192
	;; [unrolled: 1-line block ×3, first 2 shown]
	v_fmac_f32_e32 v181, 0xbf4c4adb, v208
	v_add_f32_e32 v182, v182, v193
	v_mul_f32_e32 v185, 0x3ee437d1, v207
	v_fma_f32 v184, v206, s12, -v184
	v_mul_f32_e32 v188, 0xbf763a35, v209
	v_mul_f32_e32 v189, 0xbe8c1d8e, v207
	;; [unrolled: 1-line block ×4, first 2 shown]
	v_add_f32_e32 v175, v175, v187
	v_add_f32_e32 v176, v176, v183
	;; [unrolled: 1-line block ×4, first 2 shown]
	v_mov_b32_e32 v183, v185
	v_add_f32_e32 v184, v184, v191
	v_mov_b32_e32 v186, v188
	v_mov_b32_e32 v187, v189
	;; [unrolled: 1-line block ×4, first 2 shown]
	v_fmac_f32_e32 v183, 0xbf65296c, v208
	v_fmac_f32_e32 v185, 0x3f65296c, v208
	;; [unrolled: 1-line block ×4, first 2 shown]
	v_fma_f32 v188, v206, s16, -v188
	v_fmac_f32_e32 v189, 0xbf763a35, v208
	v_fmac_f32_e32 v190, 0x3dbcf732, v206
	;; [unrolled: 1-line block ×3, first 2 shown]
	v_fma_f32 v192, v206, s13, -v192
	v_fmac_f32_e32 v193, 0x3f7ee86f, v208
	v_add_f32_e32 v183, v183, v199
	v_add_f32_e32 v185, v185, v194
	;; [unrolled: 1-line block ×10, first 2 shown]
	s_waitcnt lgkmcnt(0)
	; wave barrier
	ds_write2_b64 v240, v[144:145], v[156:157] offset1:1
	ds_write2_b64 v240, v[166:167], v[170:171] offset0:2 offset1:3
	ds_write2_b64 v240, v[174:175], v[178:179] offset0:4 offset1:5
	;; [unrolled: 1-line block ×7, first 2 shown]
	ds_write_b64 v240, v[164:165] offset:128
	s_and_saveexec_b64 s[2:3], s[0:1]
	s_cbranch_execz .LBB0_13
; %bb.12:
	v_sub_f32_e32 v174, v146, v218
	v_mul_f32_e32 v166, 0xbf06c442, v174
	v_sub_f32_e32 v175, v148, v132
	v_add_f32_e32 v190, v219, v147
	v_mov_b32_e32 v144, v166
	v_mul_f32_e32 v167, 0x3f65296c, v175
	v_fmac_f32_e32 v144, 0xbf59a7d5, v190
	v_add_f32_e32 v191, v133, v149
	v_mov_b32_e32 v145, v167
	v_sub_f32_e32 v176, v150, v128
	v_add_f32_e32 v144, v131, v144
	v_fmac_f32_e32 v145, 0x3ee437d1, v191
	v_mul_f32_e32 v168, 0xbf7ee86f, v176
	v_add_f32_e32 v144, v145, v144
	v_add_f32_e32 v192, v129, v151
	v_mov_b32_e32 v145, v168
	v_sub_f32_e32 v177, v152, v140
	v_fmac_f32_e32 v145, 0x3dbcf732, v192
	v_mul_f32_e32 v169, 0x3f4c4adb, v177
	v_add_f32_e32 v144, v145, v144
	v_add_f32_e32 v193, v141, v153
	v_mov_b32_e32 v145, v169
	v_sub_f32_e32 v178, v154, v138
	v_fmac_f32_e32 v145, 0xbf1a4643, v193
	v_mul_f32_e32 v170, 0xbeb8f4ab, v178
	v_add_f32_e32 v144, v145, v144
	v_add_f32_e32 v194, v139, v155
	v_mov_b32_e32 v145, v170
	v_sub_f32_e32 v179, v142, v162
	v_fmac_f32_e32 v145, 0x3f6eb680, v194
	v_mul_f32_e32 v171, 0xbe3c28d5, v179
	v_add_f32_e32 v144, v145, v144
	v_add_f32_e32 v195, v163, v143
	v_mov_b32_e32 v145, v171
	v_sub_f32_e32 v180, v158, v160
	v_fmac_f32_e32 v145, 0xbf7ba420, v195
	v_mul_f32_e32 v172, 0x3f2c7751, v180
	v_add_f32_e32 v144, v145, v144
	v_add_f32_e32 v235, v161, v159
	v_mov_b32_e32 v145, v172
	v_sub_f32_e32 v181, v134, v136
	v_fmac_f32_e32 v145, 0x3f3d2fb0, v235
	v_mul_f32_e32 v173, 0xbf763a35, v181
	v_add_f32_e32 v144, v145, v144
	v_add_f32_e32 v236, v137, v135
	v_mov_b32_e32 v145, v173
	v_sub_f32_e32 v240, v147, v219
	v_fmac_f32_e32 v145, 0xbe8c1d8e, v236
	v_add_f32_e32 v182, v218, v146
	v_mul_f32_e32 v198, 0xbf06c442, v240
	v_sub_f32_e32 v253, v149, v133
	v_add_f32_e32 v1, v145, v144
	v_fma_f32 v144, v182, s18, -v198
	v_add_f32_e32 v183, v132, v148
	v_mul_f32_e32 v199, 0x3f65296c, v253
	v_sub_f32_e32 v254, v151, v129
	v_add_f32_e32 v144, v130, v144
	v_fma_f32 v156, v183, s12, -v199
	;; [unrolled: 5-line block ×7, first 2 shown]
	v_add_f32_e32 v189, v136, v134
	v_mul_f32_e32 v205, 0xbf763a35, v244
	v_add_f32_e32 v144, v156, v144
	v_fma_f32 v156, v189, s16, -v205
	v_mul_f32_e32 v164, 0xbe3c28d5, v174
	v_add_f32_e32 v0, v156, v144
	v_mov_b32_e32 v156, v164
	v_mul_f32_e32 v165, 0x3eb8f4ab, v175
	v_fmac_f32_e32 v156, 0xbf7ba420, v190
	v_mov_b32_e32 v157, v165
	v_add_f32_e32 v156, v131, v156
	v_fmac_f32_e32 v157, 0x3f6eb680, v191
	v_mul_f32_e32 v206, 0xbf06c442, v176
	v_add_f32_e32 v156, v157, v156
	v_mov_b32_e32 v157, v206
	v_fmac_f32_e32 v157, 0xbf59a7d5, v192
	v_mul_f32_e32 v207, 0x3f2c7751, v177
	v_add_f32_e32 v156, v157, v156
	v_mov_b32_e32 v157, v207
	;; [unrolled: 4-line block ×6, first 2 shown]
	buffer_store_dword v0, off, s[24:27], 0 offset:220 ; 4-byte Folded Spill
	s_nop 0
	buffer_store_dword v1, off, s[24:27], 0 offset:224 ; 4-byte Folded Spill
	v_fmac_f32_e32 v157, 0x3dbcf732, v236
	v_mul_f32_e32 v245, 0xbe3c28d5, v240
	v_add_f32_e32 v1, v157, v156
	v_fma_f32 v156, v182, s19, -v245
	v_mul_f32_e32 v246, 0x3eb8f4ab, v253
	v_add_f32_e32 v156, v130, v156
	v_fma_f32 v247, v183, s4, -v246
	v_add_f32_e32 v156, v247, v156
	v_mul_f32_e32 v247, 0xbf06c442, v254
	v_fma_f32 v248, v184, s18, -v247
	v_add_f32_e32 v156, v248, v156
	v_mul_f32_e32 v248, 0x3f2c7751, v255
	;; [unrolled: 3-line block ×4, first 2 shown]
	v_fma_f32 v164, v190, s19, -v164
	v_fma_f32 v251, v187, s12, -v250
	v_add_f32_e32 v164, v131, v164
	v_fma_f32 v165, v191, s4, -v165
	v_add_f32_e32 v156, v251, v156
	v_mul_f32_e32 v251, 0xbf763a35, v243
	v_add_f32_e32 v164, v165, v164
	v_fma_f32 v165, v192, s18, -v206
	buffer_store_dword v215, off, s[24:27], 0 offset:192 ; 4-byte Folded Spill
	buffer_store_dword v210, off, s[24:27], 0 offset:236 ; 4-byte Folded Spill
	v_fma_f32 v210, v188, s16, -v251
	v_add_f32_e32 v164, v165, v164
	v_fma_f32 v165, v193, s5, -v207
	v_add_f32_e32 v156, v210, v156
	v_mul_f32_e32 v210, 0x3f7ee86f, v244
	buffer_store_dword v211, off, s[24:27], 0 offset:196 ; 4-byte Folded Spill
	s_nop 0
	buffer_store_dword v212, off, s[24:27], 0 offset:200 ; 4-byte Folded Spill
	v_add_f32_e32 v164, v165, v164
	v_fma_f32 v165, v194, s17, -v208
	v_fma_f32 v211, v189, s13, -v210
	v_add_f32_e32 v164, v165, v164
	v_fma_f32 v165, v195, s12, -v209
	v_add_f32_e32 v0, v211, v156
	v_add_f32_e32 v164, v165, v164
	v_fma_f32 v165, v235, s16, -v222
	buffer_store_dword v0, off, s[24:27], 0 offset:228 ; 4-byte Folded Spill
	s_nop 0
	buffer_store_dword v1, off, s[24:27], 0 offset:232 ; 4-byte Folded Spill
	v_add_f32_e32 v164, v165, v164
	v_fma_f32 v165, v236, s13, -v239
	v_fmac_f32_e32 v245, 0xbf7ba420, v182
	v_add_f32_e32 v1, v165, v164
	v_add_f32_e32 v164, v130, v245
	v_fmac_f32_e32 v246, 0x3f6eb680, v183
	v_add_f32_e32 v164, v246, v164
	v_fmac_f32_e32 v247, 0xbf59a7d5, v184
	v_fma_f32 v166, v190, s18, -v166
	v_add_f32_e32 v164, v247, v164
	v_fmac_f32_e32 v248, 0x3f3d2fb0, v185
	v_add_f32_e32 v166, v131, v166
	v_fma_f32 v167, v191, s12, -v167
	v_add_f32_e32 v164, v248, v164
	v_fmac_f32_e32 v249, 0xbf1a4643, v186
	v_add_f32_e32 v166, v167, v166
	v_fma_f32 v167, v192, s13, -v168
	v_add_f32_e32 v164, v249, v164
	v_fmac_f32_e32 v250, 0x3ee437d1, v187
	v_add_f32_e32 v166, v167, v166
	v_fma_f32 v167, v193, s17, -v169
	v_add_f32_e32 v164, v250, v164
	v_fmac_f32_e32 v251, 0xbe8c1d8e, v188
	v_add_f32_e32 v166, v167, v166
	v_fma_f32 v167, v194, s4, -v170
	v_add_f32_e32 v164, v251, v164
	v_fmac_f32_e32 v210, 0x3dbcf732, v189
	v_add_f32_e32 v166, v167, v166
	v_fma_f32 v167, v195, s19, -v171
	v_add_f32_e32 v0, v210, v164
	v_add_f32_e32 v166, v167, v166
	v_fma_f32 v167, v235, s5, -v172
	buffer_store_dword v0, off, s[24:27], 0 offset:240 ; 4-byte Folded Spill
	s_nop 0
	buffer_store_dword v1, off, s[24:27], 0 offset:244 ; 4-byte Folded Spill
	v_add_f32_e32 v166, v167, v166
	v_fma_f32 v167, v236, s16, -v173
	v_fmac_f32_e32 v198, 0xbf59a7d5, v182
	v_add_f32_e32 v1, v167, v166
	v_add_f32_e32 v166, v130, v198
	v_fmac_f32_e32 v199, 0x3ee437d1, v183
	v_mul_f32_e32 v198, 0xbf1a4643, v190
	v_add_f32_e32 v166, v199, v166
	v_mov_b32_e32 v168, v198
	v_mul_f32_e32 v199, 0xbe8c1d8e, v191
	v_fmac_f32_e32 v200, 0x3dbcf732, v184
	v_fmac_f32_e32 v168, 0x3f4c4adb, v174
	v_mov_b32_e32 v169, v199
	v_add_f32_e32 v166, v200, v166
	v_add_f32_e32 v168, v131, v168
	v_fmac_f32_e32 v169, 0xbf763a35, v175
	v_mul_f32_e32 v200, 0x3f6eb680, v192
	v_fmac_f32_e32 v201, 0xbf1a4643, v185
	v_add_f32_e32 v168, v169, v168
	v_mov_b32_e32 v169, v200
	v_add_f32_e32 v166, v201, v166
	v_fmac_f32_e32 v169, 0x3eb8f4ab, v176
	v_mul_f32_e32 v201, 0xbf59a7d5, v193
	v_fmac_f32_e32 v202, 0x3f6eb680, v186
	v_add_f32_e32 v168, v169, v168
	v_mov_b32_e32 v169, v201
	;; [unrolled: 6-line block ×5, first 2 shown]
	v_add_f32_e32 v0, v205, v166
	v_fmac_f32_e32 v169, 0x3e3c28d5, v180
	v_mul_f32_e32 v205, 0x3ee437d1, v236
	v_add_f32_e32 v168, v169, v168
	v_mov_b32_e32 v169, v205
	buffer_store_dword v0, off, s[24:27], 0 offset:248 ; 4-byte Folded Spill
	s_nop 0
	buffer_store_dword v1, off, s[24:27], 0 offset:252 ; 4-byte Folded Spill
	v_fmac_f32_e32 v169, 0xbf65296c, v181
	v_add_f32_e32 v1, v169, v168
	v_mul_f32_e32 v168, 0xbf4c4adb, v240
	buffer_store_dword v168, off, s[24:27], 0 offset:280 ; 4-byte Folded Spill
	v_fmac_f32_e32 v168, 0xbf1a4643, v182
	v_mul_f32_e32 v170, 0x3f763a35, v253
	v_add_f32_e32 v168, v130, v168
	buffer_store_dword v170, off, s[24:27], 0 offset:284 ; 4-byte Folded Spill
	v_fmac_f32_e32 v170, 0xbe8c1d8e, v183
	v_add_f32_e32 v168, v170, v168
	v_mul_f32_e32 v170, 0xbeb8f4ab, v254
	buffer_store_dword v170, off, s[24:27], 0 offset:288 ; 4-byte Folded Spill
	v_fmac_f32_e32 v170, 0x3f6eb680, v184
	v_add_f32_e32 v168, v170, v168
	v_mul_f32_e32 v170, 0xbf06c442, v255
	;; [unrolled: 4-line block ×6, first 2 shown]
	buffer_store_dword v170, off, s[24:27], 0 offset:308 ; 4-byte Folded Spill
	v_fmac_f32_e32 v170, 0x3ee437d1, v189
	v_mul_f32_e32 v249, 0xbe8c1d8e, v190
	v_add_f32_e32 v0, v170, v168
	v_mov_b32_e32 v170, v249
	v_mul_f32_e32 v250, 0xbf59a7d5, v191
	v_fmac_f32_e32 v170, 0x3f763a35, v174
	v_mov_b32_e32 v171, v250
	v_add_f32_e32 v170, v131, v170
	v_fmac_f32_e32 v171, 0xbf06c442, v175
	v_mul_f32_e32 v251, 0x3f3d2fb0, v192
	v_add_f32_e32 v170, v171, v170
	v_mov_b32_e32 v171, v251
	v_fmac_f32_e32 v171, 0xbf2c7751, v176
	v_mul_f32_e32 v212, 0x3ee437d1, v193
	v_add_f32_e32 v170, v171, v170
	v_mov_b32_e32 v171, v212
	v_mov_b32_e32 v2, v213
	v_fmac_f32_e32 v171, 0x3f65296c, v177
	v_mov_b32_e32 v3, v214
	v_mul_f32_e32 v213, 0xbf7ba420, v194
	v_add_f32_e32 v170, v171, v170
	v_mov_b32_e32 v171, v213
	v_fmac_f32_e32 v171, 0x3e3c28d5, v178
	v_mul_f32_e32 v214, 0x3dbcf732, v195
	v_add_f32_e32 v170, v171, v170
	v_mov_b32_e32 v171, v214
	v_fmac_f32_e32 v171, 0xbf7ee86f, v179
	v_mul_f32_e32 v215, 0x3f6eb680, v235
	buffer_store_dword v0, off, s[24:27], 0 offset:256 ; 4-byte Folded Spill
	s_nop 0
	buffer_store_dword v1, off, s[24:27], 0 offset:260 ; 4-byte Folded Spill
	v_add_f32_e32 v170, v171, v170
	v_mov_b32_e32 v171, v215
	buffer_store_dword v238, off, s[24:27], 0 offset:212 ; 4-byte Folded Spill
	v_mov_b32_e32 v239, v217
	v_fmac_f32_e32 v171, 0x3eb8f4ab, v180
	v_mov_b32_e32 v238, v216
	v_mul_f32_e32 v216, 0xbf1a4643, v236
	v_add_f32_e32 v170, v171, v170
	v_mov_b32_e32 v171, v216
	v_fmac_f32_e32 v171, 0x3f4c4adb, v181
	v_add_f32_e32 v1, v171, v170
	v_mul_f32_e32 v170, 0xbf763a35, v240
	buffer_store_dword v170, off, s[24:27], 0 offset:312 ; 4-byte Folded Spill
	v_fmac_f32_e32 v170, 0xbe8c1d8e, v182
	v_mul_f32_e32 v172, 0x3f06c442, v253
	v_add_f32_e32 v170, v130, v170
	buffer_store_dword v172, off, s[24:27], 0 offset:316 ; 4-byte Folded Spill
	v_fmac_f32_e32 v172, 0xbf59a7d5, v183
	v_add_f32_e32 v170, v172, v170
	v_mul_f32_e32 v172, 0x3f2c7751, v254
	buffer_store_dword v172, off, s[24:27], 0 offset:320 ; 4-byte Folded Spill
	v_fmac_f32_e32 v172, 0x3f3d2fb0, v184
	v_add_f32_e32 v170, v172, v170
	v_mul_f32_e32 v172, 0xbf65296c, v255
	;; [unrolled: 4-line block ×6, first 2 shown]
	v_mov_b32_e32 v234, v227
	buffer_store_dword v172, off, s[24:27], 0 offset:340 ; 4-byte Folded Spill
	v_fmac_f32_e32 v172, 0xbf1a4643, v189
	v_mov_b32_e32 v233, v226
	v_mul_f32_e32 v226, 0x3dbcf732, v190
	v_add_f32_e32 v0, v172, v170
	v_mov_b32_e32 v172, v226
	v_mul_f32_e32 v227, 0xbf7ba420, v191
	v_add_f32_e32 v147, v147, v131
	v_fmac_f32_e32 v172, 0x3f7ee86f, v174
	v_mov_b32_e32 v173, v227
	v_mov_b32_e32 v18, v228
	v_add_f32_e32 v147, v149, v147
	v_add_f32_e32 v172, v131, v172
	v_fmac_f32_e32 v173, 0x3e3c28d5, v175
	v_mov_b32_e32 v19, v229
	v_mul_f32_e32 v228, 0xbe8c1d8e, v192
	v_mov_b32_e32 v209, v39
	v_add_f32_e32 v147, v151, v147
	v_add_f32_e32 v172, v173, v172
	v_mov_b32_e32 v173, v228
	v_mov_b32_e32 v208, v38
	;; [unrolled: 1-line block ×5, first 2 shown]
	v_add_f32_e32 v147, v153, v147
	buffer_store_dword v0, off, s[24:27], 0 offset:264 ; 4-byte Folded Spill
	s_nop 0
	buffer_store_dword v1, off, s[24:27], 0 offset:268 ; 4-byte Folded Spill
	v_fmac_f32_e32 v173, 0xbf763a35, v176
	buffer_store_dword v252, off, s[24:27], 0 offset:216 ; 4-byte Folded Spill
	v_mul_f32_e32 v252, 0x3f6eb680, v193
	v_mov_b32_e32 v38, v34
	v_mov_b32_e32 v37, v33
	;; [unrolled: 1-line block ×4, first 2 shown]
	v_add_f32_e32 v147, v155, v147
	v_add_f32_e32 v172, v173, v172
	v_mov_b32_e32 v173, v252
	v_mov_b32_e32 v34, v30
	;; [unrolled: 1-line block ×5, first 2 shown]
	v_add_f32_e32 v143, v143, v147
	v_fmac_f32_e32 v173, 0xbeb8f4ab, v177
	v_mul_f32_e32 v229, 0x3ee437d1, v194
	v_mov_b32_e32 v30, v26
	v_mov_b32_e32 v29, v25
	;; [unrolled: 1-line block ×4, first 2 shown]
	v_add_f32_e32 v143, v159, v143
	v_add_f32_e32 v172, v173, v172
	v_mov_b32_e32 v173, v229
	v_mov_b32_e32 v26, v22
	;; [unrolled: 1-line block ×5, first 2 shown]
	v_add_f32_e32 v135, v135, v143
	v_fmac_f32_e32 v173, 0x3f65296c, v178
	v_mov_b32_e32 v21, v231
	v_mul_f32_e32 v230, 0xbf59a7d5, v195
	v_add_f32_e32 v135, v137, v135
	v_add_f32_e32 v172, v173, v172
	v_mov_b32_e32 v173, v230
	v_add_f32_e32 v135, v161, v135
	v_fmac_f32_e32 v173, 0x3f06c442, v179
	v_mul_f32_e32 v231, 0xbf1a4643, v235
	v_add_f32_e32 v135, v163, v135
	v_add_f32_e32 v172, v173, v172
	v_mov_b32_e32 v173, v231
	v_add_f32_e32 v135, v139, v135
	v_fmac_f32_e32 v173, 0xbf4c4adb, v180
	buffer_store_dword v232, off, s[24:27], 0 offset:208 ; 4-byte Folded Spill
	v_mul_f32_e32 v232, 0x3f3d2fb0, v236
	v_add_f32_e32 v135, v141, v135
	v_add_f32_e32 v172, v173, v172
	v_mov_b32_e32 v173, v232
	v_add_f32_e32 v129, v129, v135
	v_fmac_f32_e32 v173, 0xbf2c7751, v181
	v_add_f32_e32 v129, v133, v129
	v_add_f32_e32 v133, v146, v130
	;; [unrolled: 1-line block ×3, first 2 shown]
	v_mul_f32_e32 v172, 0xbf7ee86f, v240
	v_add_f32_e32 v133, v148, v133
	buffer_store_dword v172, off, s[24:27], 0 offset:344 ; 4-byte Folded Spill
	v_fmac_f32_e32 v172, 0x3dbcf732, v182
	v_mul_f32_e32 v245, 0xbe3c28d5, v253
	v_add_f32_e32 v133, v150, v133
	v_add_f32_e32 v172, v130, v172
	buffer_store_dword v245, off, s[24:27], 0 offset:348 ; 4-byte Folded Spill
	v_fmac_f32_e32 v245, 0xbf7ba420, v183
	v_add_f32_e32 v133, v152, v133
	v_add_f32_e32 v172, v245, v172
	v_mul_f32_e32 v245, 0x3f763a35, v254
	v_add_f32_e32 v133, v154, v133
	buffer_store_dword v245, off, s[24:27], 0 offset:352 ; 4-byte Folded Spill
	v_fmac_f32_e32 v245, 0xbe8c1d8e, v184
	v_mul_f32_e32 v145, 0x3eb8f4ab, v255
	v_add_f32_e32 v133, v142, v133
	v_add_f32_e32 v172, v245, v172
	buffer_store_dword v145, off, s[24:27], 0 offset:356 ; 4-byte Folded Spill
	v_fmac_f32_e32 v145, 0x3f6eb680, v185
	v_add_f32_e32 v133, v158, v133
	v_add_f32_e32 v145, v145, v172
	v_mul_f32_e32 v172, 0xbf65296c, v241
	v_add_f32_e32 v133, v134, v133
	buffer_store_dword v172, off, s[24:27], 0 offset:360 ; 4-byte Folded Spill
	v_fmac_f32_e32 v172, 0x3ee437d1, v186
	v_add_f32_e32 v133, v136, v133
	v_add_f32_e32 v145, v172, v145
	v_mul_f32_e32 v172, 0xbf06c442, v242
	v_add_f32_e32 v133, v160, v133
	buffer_store_dword v172, off, s[24:27], 0 offset:364 ; 4-byte Folded Spill
	v_fmac_f32_e32 v172, 0xbf59a7d5, v187
	v_mul_f32_e32 v157, 0x3f4c4adb, v243
	v_add_f32_e32 v133, v162, v133
	v_add_f32_e32 v145, v172, v145
	buffer_store_dword v157, off, s[24:27], 0 offset:368 ; 4-byte Folded Spill
	v_fmac_f32_e32 v157, 0xbf1a4643, v188
	v_mul_f32_e32 v172, 0x3f2c7751, v244
	v_add_f32_e32 v133, v138, v133
	v_add_f32_e32 v145, v157, v145
	buffer_store_dword v172, off, s[24:27], 0 offset:372 ; 4-byte Folded Spill
	v_fmac_f32_e32 v172, 0x3f3d2fb0, v189
	v_add_f32_e32 v133, v140, v133
	v_add_f32_e32 v0, v172, v145
	;; [unrolled: 1-line block ×3, first 2 shown]
	v_mov_b32_e32 v22, v218
	buffer_store_dword v0, off, s[24:27], 0 offset:272 ; 4-byte Folded Spill
	s_nop 0
	buffer_store_dword v1, off, s[24:27], 0 offset:276 ; 4-byte Folded Spill
	v_add_f32_e32 v128, v132, v128
	v_add_f32_e32 v128, v22, v128
	buffer_load_dword v22, off, s[24:27], 0 offset:280 ; 4-byte Folded Reload
	v_fmac_f32_e32 v198, 0xbf4c4adb, v174
	v_add_f32_e32 v132, v131, v198
	v_fmac_f32_e32 v199, 0x3f763a35, v175
	v_add_f32_e32 v132, v199, v132
	;; [unrolled: 2-line block ×8, first 2 shown]
	v_fmac_f32_e32 v249, 0xbf763a35, v174
	v_fmac_f32_e32 v250, 0x3f06c442, v175
	;; [unrolled: 1-line block ×15, first 2 shown]
	buffer_store_dword v225, off, s[24:27], 0 offset:204 ; 4-byte Folded Spill
	v_fmac_f32_e32 v232, 0x3f2c7751, v181
	v_mul_f32_e32 v145, 0x3ee437d1, v190
	v_mov_b32_e32 v245, v145
	v_mul_f32_e32 v0, 0xbf1a4643, v191
	v_fmac_f32_e32 v245, 0x3f65296c, v174
	v_mov_b32_e32 v165, v0
	v_mul_f32_e32 v217, 0xbf7ba420, v192
	v_add_f32_e32 v245, v131, v245
	v_fmac_f32_e32 v165, 0x3f4c4adb, v175
	v_mov_b32_e32 v167, v217
	v_add_f32_e32 v165, v165, v245
	v_fmac_f32_e32 v167, 0xbe3c28d5, v176
	v_add_f32_e32 v165, v167, v165
	v_mul_f32_e32 v167, 0xbe8c1d8e, v193
	v_mov_b32_e32 v23, v219
	v_mov_b32_e32 v245, v167
	v_mul_f32_e32 v218, 0x3f3d2fb0, v194
	v_fmac_f32_e32 v245, 0xbf763a35, v177
	v_mov_b32_e32 v219, v218
	v_add_f32_e32 v165, v245, v165
	v_fmac_f32_e32 v219, 0xbf2c7751, v178
	v_add_f32_e32 v165, v219, v165
	v_mul_f32_e32 v219, 0x3f6eb680, v195
	v_mov_b32_e32 v16, v220
	v_mov_b32_e32 v17, v221
	;; [unrolled: 1-line block ×3, first 2 shown]
	v_fmac_f32_e32 v220, 0x3eb8f4ab, v179
	v_add_f32_e32 v165, v220, v165
	v_mul_f32_e32 v220, 0x3dbcf732, v235
	v_mov_b32_e32 v221, v220
	v_fmac_f32_e32 v221, 0x3f7ee86f, v180
	v_add_f32_e32 v165, v221, v165
	v_mul_f32_e32 v221, 0xbf59a7d5, v236
	v_mov_b32_e32 v245, v221
	v_fmac_f32_e32 v245, 0x3f06c442, v181
	v_mul_f32_e32 v225, 0xbf65296c, v240
	v_add_f32_e32 v246, v245, v165
	v_mov_b32_e32 v245, v225
	v_mul_f32_e32 v222, 0xbf4c4adb, v253
	v_fmac_f32_e32 v245, 0x3ee437d1, v182
	v_mov_b32_e32 v169, v222
	v_mul_f32_e32 v173, 0x3e3c28d5, v254
	v_add_f32_e32 v245, v130, v245
	v_fmac_f32_e32 v169, 0xbf1a4643, v183
	v_mov_b32_e32 v170, v173
	v_mul_f32_e32 v171, 0x3f763a35, v255
	v_add_f32_e32 v169, v169, v245
	s_waitcnt vmcnt(1)
	v_fma_f32 v132, v182, s17, -v22
	buffer_load_dword v22, off, s[24:27], 0 offset:284 ; 4-byte Folded Reload
	v_add_f32_e32 v132, v130, v132
	v_fmac_f32_e32 v170, 0xbf7ba420, v184
	v_mov_b32_e32 v245, v171
	v_add_f32_e32 v169, v170, v169
	v_fmac_f32_e32 v245, 0xbe8c1d8e, v185
	v_mul_f32_e32 v170, 0x3f2c7751, v241
	v_add_f32_e32 v169, v245, v169
	v_mov_b32_e32 v245, v170
	v_fmac_f32_e32 v245, 0x3f3d2fb0, v186
	v_mul_f32_e32 v168, 0xbeb8f4ab, v242
	v_add_f32_e32 v169, v245, v169
	v_mov_b32_e32 v245, v168
	v_fmac_f32_e32 v245, 0x3f6eb680, v187
	v_mul_f32_e32 v166, 0xbf7ee86f, v243
	v_add_f32_e32 v169, v245, v169
	v_mov_b32_e32 v245, v166
	v_fmac_f32_e32 v245, 0x3dbcf732, v188
	v_mul_f32_e32 v165, 0xbf06c442, v244
	v_add_f32_e32 v169, v245, v169
	v_mov_b32_e32 v245, v165
	v_fmac_f32_e32 v245, 0xbf59a7d5, v189
	v_add_f32_e32 v245, v245, v169
	v_mul_f32_e32 v169, 0x3f3d2fb0, v190
	v_mov_b32_e32 v247, v169
	v_mul_f32_e32 v4, 0x3dbcf732, v191
	v_fmac_f32_e32 v247, 0x3f2c7751, v174
	v_mov_b32_e32 v5, v4
	v_mul_f32_e32 v6, 0xbf1a4643, v192
	v_add_f32_e32 v247, v131, v247
	v_fmac_f32_e32 v5, 0x3f7ee86f, v175
	v_mov_b32_e32 v7, v6
	v_add_f32_e32 v5, v5, v247
	v_fmac_f32_e32 v7, 0x3f4c4adb, v176
	v_add_f32_e32 v5, v7, v5
	v_mul_f32_e32 v7, 0xbf7ba420, v193
	v_mov_b32_e32 v247, v7
	v_mul_f32_e32 v8, 0xbf59a7d5, v194
	v_fmac_f32_e32 v247, 0x3e3c28d5, v177
	v_mov_b32_e32 v9, v8
	v_add_f32_e32 v5, v247, v5
	v_fmac_f32_e32 v9, 0xbf06c442, v178
	v_add_f32_e32 v5, v9, v5
	v_mul_f32_e32 v9, 0xbe8c1d8e, v195
	v_mov_b32_e32 v10, v9
	v_fmac_f32_e32 v10, 0xbf763a35, v179
	v_add_f32_e32 v5, v10, v5
	v_mul_f32_e32 v10, 0x3ee437d1, v235
	v_mov_b32_e32 v11, v10
	;; [unrolled: 4-line block ×3, first 2 shown]
	v_fmac_f32_e32 v145, 0xbf65296c, v174
	v_fmac_f32_e32 v247, 0xbeb8f4ab, v181
	v_mul_f32_e32 v164, 0xbf2c7751, v240
	v_fmac_f32_e32 v0, 0xbf4c4adb, v175
	v_add_f32_e32 v248, v247, v5
	v_mov_b32_e32 v247, v164
	v_mul_f32_e32 v157, 0xbf7ee86f, v253
	v_fmac_f32_e32 v217, 0x3e3c28d5, v176
	v_fmac_f32_e32 v247, 0x3f3d2fb0, v182
	v_mov_b32_e32 v1, v157
	v_fmac_f32_e32 v167, 0x3f763a35, v177
	v_add_f32_e32 v247, v130, v247
	v_fmac_f32_e32 v1, 0x3dbcf732, v183
	v_mul_f32_e32 v210, 0xbf4c4adb, v254
	v_fmac_f32_e32 v218, 0x3f2c7751, v178
	v_add_f32_e32 v1, v1, v247
	v_mov_b32_e32 v247, v210
	v_mul_f32_e32 v156, 0xbe3c28d5, v255
	v_fmac_f32_e32 v219, 0xbeb8f4ab, v179
	v_fmac_f32_e32 v247, 0xbf1a4643, v184
	v_mov_b32_e32 v211, v156
	v_fmac_f32_e32 v220, 0xbf7ee86f, v180
	v_add_f32_e32 v1, v247, v1
	v_fmac_f32_e32 v211, 0xbf7ba420, v185
	v_fmac_f32_e32 v221, 0xbf06c442, v181
	v_add_f32_e32 v1, v211, v1
	v_mul_f32_e32 v211, 0x3f06c442, v241
	s_waitcnt vmcnt(0)
	v_fma_f32 v134, v183, s16, -v22
	buffer_load_dword v22, off, s[24:27], 0 offset:288 ; 4-byte Folded Reload
	v_add_f32_e32 v132, v134, v132
	v_mov_b32_e32 v247, v211
	v_fmac_f32_e32 v247, 0xbf59a7d5, v186
	v_mul_f32_e32 v144, 0x3f763a35, v242
	v_add_f32_e32 v1, v247, v1
	v_mov_b32_e32 v247, v144
	v_fmac_f32_e32 v247, 0xbe8c1d8e, v187
	v_mul_f32_e32 v5, 0x3f65296c, v243
	;; [unrolled: 4-line block ×3, first 2 shown]
	v_add_f32_e32 v1, v247, v1
	v_mov_b32_e32 v247, v172
	v_fmac_f32_e32 v169, 0xbf2c7751, v174
	v_fmac_f32_e32 v247, 0x3f6eb680, v189
	;; [unrolled: 1-line block ×3, first 2 shown]
	v_add_f32_e32 v247, v247, v1
	v_mul_f32_e32 v1, 0x3f6eb680, v190
	v_fmac_f32_e32 v6, 0xbf4c4adb, v176
	v_mov_b32_e32 v190, v1
	v_mul_f32_e32 v12, 0x3f3d2fb0, v191
	v_fmac_f32_e32 v7, 0xbe3c28d5, v177
	v_fmac_f32_e32 v190, 0x3eb8f4ab, v174
	v_mov_b32_e32 v13, v12
	v_mul_f32_e32 v14, 0x3ee437d1, v192
	v_fmac_f32_e32 v8, 0x3f06c442, v178
	v_add_f32_e32 v190, v131, v190
	v_fmac_f32_e32 v13, 0x3f2c7751, v175
	v_mov_b32_e32 v15, v14
	v_fmac_f32_e32 v9, 0x3f763a35, v179
	v_add_f32_e32 v13, v13, v190
	v_fmac_f32_e32 v15, 0x3f65296c, v176
	v_fmac_f32_e32 v10, 0x3f65296c, v180
	v_add_f32_e32 v13, v15, v13
	v_mul_f32_e32 v15, 0x3dbcf732, v193
	v_fmac_f32_e32 v11, 0x3eb8f4ab, v181
	v_mov_b32_e32 v190, v15
	v_fmac_f32_e32 v190, 0x3f7ee86f, v177
	v_mul_f32_e32 v192, 0xbe8c1d8e, v194
	v_add_f32_e32 v13, v190, v13
	v_mov_b32_e32 v190, v192
	v_fmac_f32_e32 v190, 0x3f763a35, v178
	v_mul_f32_e32 v193, 0xbf1a4643, v195
	v_add_f32_e32 v13, v190, v13
	;; [unrolled: 4-line block ×3, first 2 shown]
	v_mov_b32_e32 v190, v194
	v_fmac_f32_e32 v190, 0x3f06c442, v180
	v_mul_f32_e32 v195, 0xbf7ba420, v236
	v_fmac_f32_e32 v1, 0xbeb8f4ab, v174
	v_add_f32_e32 v13, v190, v13
	v_mov_b32_e32 v190, v195
	v_fmac_f32_e32 v12, 0xbf2c7751, v175
	v_fmac_f32_e32 v190, 0x3e3c28d5, v181
	v_fmac_f32_e32 v14, 0xbf65296c, v176
	v_add_f32_e32 v191, v190, v13
	v_mul_f32_e32 v13, 0xbeb8f4ab, v240
	v_fmac_f32_e32 v15, 0xbf7ee86f, v177
	v_mov_b32_e32 v190, v13
	v_mul_f32_e32 v235, 0xbf2c7751, v253
	v_fmac_f32_e32 v192, 0xbf763a35, v178
	v_fmac_f32_e32 v190, 0x3f6eb680, v182
	v_mov_b32_e32 v236, v235
	v_fmac_f32_e32 v193, 0xbf4c4adb, v179
	v_add_f32_e32 v190, v130, v190
	v_fmac_f32_e32 v236, 0x3f3d2fb0, v183
	v_fmac_f32_e32 v194, 0xbf06c442, v180
	v_add_f32_e32 v190, v236, v190
	v_mul_f32_e32 v236, 0xbf65296c, v254
	v_fmac_f32_e32 v195, 0xbe3c28d5, v181
	v_mov_b32_e32 v240, v236
	v_fmac_f32_e32 v240, 0x3ee437d1, v184
	v_add_f32_e32 v190, v240, v190
	v_mul_f32_e32 v240, 0xbf7ee86f, v255
	v_mul_f32_e32 v241, 0xbf763a35, v241
	;; [unrolled: 1-line block ×3, first 2 shown]
	s_waitcnt vmcnt(0)
	v_fma_f32 v134, v184, s4, -v22
	buffer_load_dword v22, off, s[24:27], 0 offset:292 ; 4-byte Folded Reload
	v_add_f32_e32 v132, v134, v132
	v_mul_f32_e32 v243, 0xbf06c442, v243
	v_mul_f32_e32 v244, 0xbe3c28d5, v244
	v_mov_b32_e32 v253, v240
	v_fmac_f32_e32 v253, 0x3dbcf732, v185
	v_add_f32_e32 v190, v253, v190
	v_mov_b32_e32 v253, v241
	v_fmac_f32_e32 v253, 0xbe8c1d8e, v186
	v_add_f32_e32 v190, v253, v190
	;; [unrolled: 3-line block ×5, first 2 shown]
	v_add_f32_e32 v129, v23, v129
	s_waitcnt vmcnt(0)
	v_fma_f32 v134, v185, s18, -v22
	buffer_load_dword v22, off, s[24:27], 0 offset:296 ; 4-byte Folded Reload
	v_add_f32_e32 v132, v134, v132
	s_waitcnt vmcnt(0)
	v_fma_f32 v134, v186, s13, -v22
	buffer_load_dword v22, off, s[24:27], 0 offset:300 ; 4-byte Folded Reload
	;; [unrolled: 4-line block ×4, first 2 shown]
	v_add_f32_e32 v132, v134, v132
	s_waitcnt vmcnt(0)
	v_fma_f32 v134, v189, s12, -v22
	v_add_f32_e32 v132, v134, v132
	v_add_f32_e32 v134, v131, v249
	;; [unrolled: 1-line block ×7, first 2 shown]
	v_mov_b32_e32 v214, v3
	v_mov_b32_e32 v213, v2
	buffer_load_dword v2, off, s[24:27], 0 offset:312 ; 4-byte Folded Reload
	v_add_f32_e32 v134, v215, v134
	v_add_f32_e32 v135, v216, v134
	v_fma_f32 v3, v188, s12, -v5
	s_waitcnt vmcnt(0)
	v_fma_f32 v134, v182, s16, -v2
	buffer_load_dword v2, off, s[24:27], 0 offset:316 ; 4-byte Folded Reload
	v_add_f32_e32 v134, v130, v134
	s_waitcnt vmcnt(0)
	v_fma_f32 v136, v183, s18, -v2
	buffer_load_dword v2, off, s[24:27], 0 offset:320 ; 4-byte Folded Reload
	v_add_f32_e32 v134, v136, v134
	;; [unrolled: 4-line block ×7, first 2 shown]
	s_waitcnt vmcnt(0)
	v_fma_f32 v136, v189, s17, -v2
	v_add_f32_e32 v134, v136, v134
	v_add_f32_e32 v136, v131, v226
	v_add_f32_e32 v136, v227, v136
	v_add_f32_e32 v136, v228, v136
	v_add_f32_e32 v136, v252, v136
	v_add_f32_e32 v136, v229, v136
	v_add_f32_e32 v136, v230, v136
	v_add_f32_e32 v136, v231, v136
	buffer_load_dword v252, off, s[24:27], 0 offset:216 ; 4-byte Folded Reload
	v_add_f32_e32 v137, v232, v136
	buffer_load_dword v232, off, s[24:27], 0 offset:208 ; 4-byte Folded Reload
	buffer_load_dword v2, off, s[24:27], 0 offset:344 ; 4-byte Folded Reload
	buffer_load_dword v215, off, s[24:27], 0 offset:192 ; 4-byte Folded Reload
	v_mov_b32_e32 v231, v21
	v_mov_b32_e32 v230, v20
	;; [unrolled: 1-line block ×26, first 2 shown]
	s_waitcnt vmcnt(1)
	v_fma_f32 v136, v182, s13, -v2
	buffer_load_dword v2, off, s[24:27], 0 offset:348 ; 4-byte Folded Reload
	v_add_f32_e32 v136, v130, v136
	s_waitcnt vmcnt(0)
	v_fma_f32 v138, v183, s19, -v2
	buffer_load_dword v2, off, s[24:27], 0 offset:352 ; 4-byte Folded Reload
	v_add_f32_e32 v136, v138, v136
	;; [unrolled: 4-line block ×7, first 2 shown]
	s_waitcnt vmcnt(0)
	v_fma_f32 v138, v189, s5, -v2
	v_add_f32_e32 v136, v138, v136
	v_add_f32_e32 v138, v131, v145
	;; [unrolled: 1-line block ×9, first 2 shown]
	v_fma_f32 v0, v182, s12, -v225
	buffer_load_dword v225, off, s[24:27], 0 offset:204 ; 4-byte Folded Reload
	v_add_f32_e32 v0, v130, v0
	v_fma_f32 v138, v183, s17, -v222
	v_add_f32_e32 v0, v138, v0
	v_fma_f32 v138, v184, s19, -v173
	;; [unrolled: 2-line block ×7, first 2 shown]
	v_add_f32_e32 v138, v138, v0
	v_add_f32_e32 v0, v131, v169
	;; [unrolled: 1-line block ×9, first 2 shown]
	v_fma_f32 v0, v182, s5, -v164
	v_add_f32_e32 v0, v130, v0
	v_fma_f32 v4, v183, s13, -v157
	v_add_f32_e32 v0, v4, v0
	;; [unrolled: 2-line block ×6, first 2 shown]
	v_add_f32_e32 v0, v3, v0
	v_fma_f32 v2, v189, s4, -v172
	v_add_f32_e32 v140, v2, v0
	v_add_f32_e32 v0, v131, v1
	;; [unrolled: 1-line block ×9, first 2 shown]
	v_fma_f32 v0, v182, s4, -v13
	v_add_f32_e32 v0, v130, v0
	v_fma_f32 v1, v183, s5, -v235
	v_add_f32_e32 v0, v1, v0
	v_fma_f32 v1, v184, s12, -v236
	v_add_f32_e32 v0, v1, v0
	v_fma_f32 v1, v185, s13, -v240
	v_add_f32_e32 v0, v1, v0
	v_fma_f32 v1, v186, s16, -v241
	v_add_f32_e32 v0, v1, v0
	v_fma_f32 v1, v187, s17, -v242
	v_add_f32_e32 v0, v1, v0
	v_fma_f32 v1, v188, s18, -v243
	v_mov_b32_e32 v216, v238
	v_add_f32_e32 v0, v1, v0
	v_fma_f32 v1, v189, s19, -v244
	v_mov_b32_e32 v217, v239
	buffer_load_dword v238, off, s[24:27], 0 offset:212 ; 4-byte Folded Reload
	buffer_load_dword v211, off, s[24:27], 0 offset:196 ; 4-byte Folded Reload
	;; [unrolled: 1-line block ×3, first 2 shown]
	v_add_f32_e32 v130, v1, v0
	buffer_load_dword v0, off, s[24:27], 0 offset:236 ; 4-byte Folded Reload
	v_mov_b32_e32 v221, v17
	v_mov_b32_e32 v220, v16
	s_waitcnt vmcnt(0)
	v_mul_u32_u24_e32 v0, 17, v0
	v_lshlrev_b32_e32 v0, 3, v0
	ds_write2_b64 v0, v[128:129], v[190:191] offset1:1
	ds_write2_b64 v0, v[247:248], v[245:246] offset0:2 offset1:3
	buffer_load_dword v1, off, s[24:27], 0 offset:264 ; 4-byte Folded Reload
	buffer_load_dword v2, off, s[24:27], 0 offset:268 ; 4-byte Folded Reload
	buffer_load_dword v3, off, s[24:27], 0 offset:272 ; 4-byte Folded Reload
	buffer_load_dword v4, off, s[24:27], 0 offset:276 ; 4-byte Folded Reload
	s_waitcnt vmcnt(0)
	ds_write2_b64 v0, v[3:4], v[1:2] offset0:4 offset1:5
	buffer_load_dword v1, off, s[24:27], 0 offset:248 ; 4-byte Folded Reload
	buffer_load_dword v2, off, s[24:27], 0 offset:252 ; 4-byte Folded Reload
	buffer_load_dword v3, off, s[24:27], 0 offset:256 ; 4-byte Folded Reload
	buffer_load_dword v4, off, s[24:27], 0 offset:260 ; 4-byte Folded Reload
	s_waitcnt vmcnt(0)
	;; [unrolled: 6-line block ×3, first 2 shown]
	ds_write2_b64 v0, v[3:4], v[1:2] offset0:8 offset1:9
	buffer_load_dword v1, off, s[24:27], 0 offset:220 ; 4-byte Folded Reload
	buffer_load_dword v2, off, s[24:27], 0 offset:224 ; 4-byte Folded Reload
	s_waitcnt vmcnt(0)
	ds_write2_b64 v0, v[1:2], v[132:133] offset0:10 offset1:11
	ds_write2_b64 v0, v[134:135], v[136:137] offset0:12 offset1:13
	;; [unrolled: 1-line block ×3, first 2 shown]
	ds_write_b64 v0, v[130:131] offset:128
.LBB0_13:
	s_or_b64 exec, exec, s[2:3]
	buffer_load_dword v0, off, s[24:27], 0 offset:24 ; 4-byte Folded Reload
	buffer_load_dword v1, off, s[24:27], 0 offset:28 ; 4-byte Folded Reload
	v_add_u32_e32 v134, 0xc00, v237
	v_add_u32_e32 v131, 0x2000, v237
	;; [unrolled: 1-line block ×7, first 2 shown]
	s_waitcnt lgkmcnt(0)
	; wave barrier
	s_waitcnt lgkmcnt(0)
	ds_read2_b64 v[138:141], v237 offset1:51
	ds_read2_b64 v[142:145], v134 offset0:126 offset1:177
	ds_read2_b64 v[146:149], v131 offset0:98 offset1:149
	;; [unrolled: 1-line block ×14, first 2 shown]
	buffer_load_dword v1, off, s[24:27], 0 offset:72 ; 4-byte Folded Reload
	buffer_load_dword v2, off, s[24:27], 0 offset:76 ; 4-byte Folded Reload
	;; [unrolled: 1-line block ×8, first 2 shown]
	v_add_u32_e32 v136, 0x1c00, v237
	s_mov_b32 s4, 0x3f575c64
	s_mov_b32 s5, 0xbf27a4f4
	s_waitcnt vmcnt(9)
	v_mov_b32_e32 v195, v0
	v_mad_u64_u32 v[128:129], s[2:3], s10, v195, 0
	s_mov_b32 s2, 0x3ed4b147
	s_mov_b32 s3, 0xbe11bafb
	;; [unrolled: 1-line block ×3, first 2 shown]
	s_waitcnt vmcnt(6) lgkmcnt(13)
	v_mul_f32_e32 v0, v2, v144
	v_fma_f32 v7, v1, v145, -v0
	s_waitcnt vmcnt(4) lgkmcnt(12)
	v_mul_f32_e32 v0, v4, v146
	v_mul_f32_e32 v6, v2, v145
	;; [unrolled: 1-line block ×3, first 2 shown]
	v_fma_f32 v9, v3, v147, -v0
	s_waitcnt vmcnt(0)
	v_mul_f32_e32 v0, v16, v148
	s_waitcnt lgkmcnt(11)
	v_mul_f32_e32 v12, v14, v151
	v_mul_f32_e32 v4, v14, v150
	v_fmac_f32_e32 v6, v1, v144
	v_fmac_f32_e32 v8, v3, v146
	v_mul_f32_e32 v10, v16, v149
	v_fma_f32 v11, v15, v149, -v0
	ds_read2_b64 v[0:3], v136 offset0:124 offset1:175
	v_fmac_f32_e32 v12, v13, v150
	v_fma_f32 v13, v13, v151, -v4
	ds_read_b64 v[4:5], v237 offset:13056
	buffer_load_dword v16, off, s[24:27], 0 offset:104 ; 4-byte Folded Reload
	buffer_load_dword v17, off, s[24:27], 0 offset:108 ; 4-byte Folded Reload
	buffer_load_dword v18, off, s[24:27], 0 offset:112 ; 4-byte Folded Reload
	buffer_load_dword v19, off, s[24:27], 0 offset:116 ; 4-byte Folded Reload
	v_fmac_f32_e32 v10, v15, v148
	s_waitcnt vmcnt(2)
	v_mul_f32_e32 v14, v17, v152
	v_mul_f32_e32 v15, v17, v153
	v_fma_f32 v144, v16, v153, -v14
	s_waitcnt vmcnt(0) lgkmcnt(11)
	v_mul_f32_e32 v145, v19, v159
	v_mul_f32_e32 v14, v19, v158
	v_fmac_f32_e32 v15, v16, v152
	v_fmac_f32_e32 v145, v18, v158
	v_fma_f32 v146, v18, v159, -v14
	buffer_load_dword v16, off, s[24:27], 0 offset:120 ; 4-byte Folded Reload
	buffer_load_dword v17, off, s[24:27], 0 offset:124 ; 4-byte Folded Reload
	;; [unrolled: 1-line block ×4, first 2 shown]
	s_waitcnt lgkmcnt(7)
	v_mul_f32_e32 v159, v21, v175
	v_fmac_f32_e32 v159, v20, v174
	s_waitcnt vmcnt(2)
	v_mul_f32_e32 v14, v17, v162
	v_mul_f32_e32 v147, v17, v163
	v_fma_f32 v148, v16, v163, -v14
	s_waitcnt vmcnt(0)
	v_mul_f32_e32 v149, v19, v161
	v_mul_f32_e32 v14, v19, v160
	v_fmac_f32_e32 v147, v16, v162
	v_fmac_f32_e32 v149, v18, v160
	v_fma_f32 v150, v18, v161, -v14
	buffer_load_dword v16, off, s[24:27], 0 offset:136 ; 4-byte Folded Reload
	buffer_load_dword v17, off, s[24:27], 0 offset:140 ; 4-byte Folded Reload
	;; [unrolled: 1-line block ×4, first 2 shown]
	v_mul_f32_e32 v161, v23, v173
	v_fmac_f32_e32 v161, v22, v172
	v_mul_f32_e32 v163, v25, v177
	v_fmac_f32_e32 v163, v24, v176
	s_waitcnt lgkmcnt(0)
	; wave barrier
	s_waitcnt vmcnt(2) lgkmcnt(0)
	v_mul_f32_e32 v14, v17, v164
	v_fma_f32 v152, v16, v165, -v14
	s_waitcnt vmcnt(0)
	v_mul_f32_e32 v14, v19, v170
	v_fma_f32 v158, v18, v171, -v14
	v_mul_f32_e32 v14, v21, v174
	v_fma_f32 v160, v20, v175, -v14
	v_mul_f32_e32 v14, v23, v172
	v_mul_f32_e32 v151, v17, v165
	v_fma_f32 v162, v22, v173, -v14
	v_mul_f32_e32 v14, v25, v176
	v_fmac_f32_e32 v151, v16, v164
	v_mul_f32_e32 v153, v19, v171
	v_fma_f32 v164, v24, v177, -v14
	v_mul_f32_e32 v14, v27, v182
	v_fmac_f32_e32 v153, v18, v170
	v_mul_f32_e32 v165, v27, v183
	v_fma_f32 v170, v26, v183, -v14
	v_mul_f32_e32 v183, v37, v1
	v_mul_f32_e32 v14, v29, v186
	;; [unrolled: 1-line block ×3, first 2 shown]
	v_fmac_f32_e32 v183, v36, v0
	v_mul_f32_e32 v0, v37, v0
	v_mul_f32_e32 v171, v29, v187
	v_fma_f32 v172, v28, v187, -v14
	v_fmac_f32_e32 v173, v30, v184
	v_mul_f32_e32 v14, v31, v184
	v_fma_f32 v184, v36, v1, -v0
	v_mul_f32_e32 v0, v39, v235
	v_fmac_f32_e32 v171, v28, v186
	v_fma_f32 v174, v30, v185, -v14
	v_mul_f32_e32 v175, v33, v189
	v_mul_f32_e32 v14, v33, v188
	v_fma_f32 v186, v38, v236, -v0
	v_mul_f32_e32 v187, v41, v3
	v_mul_f32_e32 v0, v41, v2
	v_add_f32_e32 v1, v6, v8
	v_fmac_f32_e32 v175, v32, v188
	v_fma_f32 v176, v32, v189, -v14
	v_fmac_f32_e32 v187, v40, v2
	v_fma_f32 v188, v40, v3, -v0
	v_mul_f32_e32 v189, v43, v5
	v_fma_f32 v2, -0.5, v1, v138
	v_add_f32_e32 v3, v7, v9
	v_fmac_f32_e32 v189, v42, v4
	v_mul_f32_e32 v0, v43, v4
	v_sub_f32_e32 v1, v7, v9
	v_mov_b32_e32 v4, v2
	v_fma_f32 v3, -0.5, v3, v139
	v_fma_f32 v194, v42, v5, -v0
	v_add_f32_e32 v0, v138, v6
	v_fmac_f32_e32 v4, 0xbf5db3d7, v1
	v_fmac_f32_e32 v2, 0x3f5db3d7, v1
	v_add_f32_e32 v1, v139, v7
	v_sub_f32_e32 v6, v6, v8
	v_mov_b32_e32 v5, v3
	v_add_f32_e32 v7, v12, v10
	v_fmac_f32_e32 v5, 0x3f5db3d7, v6
	v_fmac_f32_e32 v3, 0xbf5db3d7, v6
	v_add_f32_e32 v6, v140, v12
	v_fma_f32 v140, -0.5, v7, v140
	v_add_f32_e32 v0, v0, v8
	v_add_f32_e32 v1, v1, v9
	v_sub_f32_e32 v7, v13, v11
	v_mov_b32_e32 v8, v140
	v_add_f32_e32 v9, v13, v11
	v_fmac_f32_e32 v8, 0xbf5db3d7, v7
	v_fmac_f32_e32 v140, 0x3f5db3d7, v7
	v_add_f32_e32 v7, v141, v13
	v_fmac_f32_e32 v141, -0.5, v9
	v_add_f32_e32 v13, v144, v146
	v_add_f32_e32 v6, v6, v10
	v_sub_f32_e32 v10, v12, v10
	v_mov_b32_e32 v9, v141
	v_fma_f32 v13, -0.5, v13, v155
	v_add_f32_e32 v7, v7, v11
	v_fmac_f32_e32 v9, 0x3f5db3d7, v10
	v_fmac_f32_e32 v141, 0xbf5db3d7, v10
	v_add_f32_e32 v10, v154, v15
	v_add_f32_e32 v11, v15, v145
	v_sub_f32_e32 v16, v15, v145
	v_mov_b32_e32 v15, v13
	v_add_f32_e32 v17, v147, v149
	v_fmac_f32_e32 v15, 0x3f5db3d7, v16
	v_fmac_f32_e32 v13, 0xbf5db3d7, v16
	v_add_f32_e32 v16, v156, v147
	v_fma_f32 v156, -0.5, v17, v156
	v_mul_f32_e32 v14, v35, v233
	v_fma_f32 v12, -0.5, v11, v154
	v_sub_f32_e32 v17, v148, v150
	v_mov_b32_e32 v18, v156
	v_add_f32_e32 v19, v148, v150
	v_fmac_f32_e32 v165, v26, v182
	v_fma_f32 v182, v34, v234, -v14
	v_sub_f32_e32 v11, v144, v146
	v_mov_b32_e32 v14, v12
	v_fmac_f32_e32 v18, 0xbf5db3d7, v17
	v_fmac_f32_e32 v156, 0x3f5db3d7, v17
	v_add_f32_e32 v17, v157, v148
	v_fmac_f32_e32 v157, -0.5, v19
	v_fmac_f32_e32 v14, 0xbf5db3d7, v11
	v_fmac_f32_e32 v12, 0x3f5db3d7, v11
	v_add_f32_e32 v11, v155, v144
	v_sub_f32_e32 v20, v147, v149
	v_mov_b32_e32 v19, v157
	v_add_f32_e32 v10, v10, v145
	v_add_f32_e32 v11, v11, v146
	;; [unrolled: 1-line block ×4, first 2 shown]
	v_fmac_f32_e32 v19, 0x3f5db3d7, v20
	v_fmac_f32_e32 v157, 0xbf5db3d7, v20
	ds_write2_b64 v225, v[0:1], v[4:5] offset1:17
	ds_write_b64 v225, v[2:3] offset:272
	ds_write2_b64 v232, v[6:7], v[8:9] offset1:17
	ds_write_b64 v232, v[140:141] offset:272
	;; [unrolled: 2-line block ×4, first 2 shown]
	buffer_load_dword v0, off, s[24:27], 0 offset:160 ; 4-byte Folded Reload
	v_add_f32_e32 v21, v151, v153
	v_fma_f32 v22, -0.5, v21, v166
	v_add_f32_e32 v23, v152, v158
	v_sub_f32_e32 v21, v152, v158
	v_mov_b32_e32 v24, v22
	v_fma_f32 v23, -0.5, v23, v167
	v_add_f32_e32 v20, v166, v151
	v_fmac_f32_e32 v24, 0xbf5db3d7, v21
	v_fmac_f32_e32 v22, 0x3f5db3d7, v21
	v_add_f32_e32 v21, v167, v152
	v_sub_f32_e32 v26, v151, v153
	v_mov_b32_e32 v25, v23
	v_add_f32_e32 v20, v20, v153
	v_add_f32_e32 v21, v21, v158
	v_fmac_f32_e32 v25, 0x3f5db3d7, v26
	v_fmac_f32_e32 v23, 0xbf5db3d7, v26
	s_waitcnt vmcnt(0)
	ds_write2_b64 v0, v[20:21], v[24:25] offset1:17
	ds_write_b64 v0, v[22:23] offset:272
	buffer_load_dword v0, off, s[24:27], 0 offset:164 ; 4-byte Folded Reload
	v_add_f32_e32 v27, v159, v161
	v_add_f32_e32 v26, v168, v159
	v_fma_f32 v168, -0.5, v27, v168
	v_sub_f32_e32 v27, v160, v162
	v_mov_b32_e32 v28, v168
	v_add_f32_e32 v29, v160, v162
	v_fmac_f32_e32 v28, 0xbf5db3d7, v27
	v_fmac_f32_e32 v168, 0x3f5db3d7, v27
	v_add_f32_e32 v27, v169, v160
	v_fmac_f32_e32 v169, -0.5, v29
	v_sub_f32_e32 v30, v159, v161
	v_mov_b32_e32 v29, v169
	v_add_f32_e32 v26, v26, v161
	v_add_f32_e32 v27, v27, v162
	v_fmac_f32_e32 v29, 0x3f5db3d7, v30
	v_fmac_f32_e32 v169, 0xbf5db3d7, v30
	s_waitcnt vmcnt(0)
	ds_write2_b64 v0, v[26:27], v[28:29] offset1:17
	ds_write_b64 v0, v[168:169] offset:272
	buffer_load_dword v0, off, s[24:27], 0 offset:168 ; 4-byte Folded Reload
	v_add_f32_e32 v31, v163, v165
	v_mul_f32_e32 v177, v35, v234
	v_fma_f32 v32, -0.5, v31, v178
	v_add_f32_e32 v33, v164, v170
	v_fmac_f32_e32 v177, v34, v233
	v_sub_f32_e32 v31, v164, v170
	v_mov_b32_e32 v34, v32
	v_fma_f32 v33, -0.5, v33, v179
	v_add_f32_e32 v30, v178, v163
	v_fmac_f32_e32 v34, 0xbf5db3d7, v31
	v_fmac_f32_e32 v32, 0x3f5db3d7, v31
	v_add_f32_e32 v31, v179, v164
	v_sub_f32_e32 v36, v163, v165
	v_mov_b32_e32 v35, v33
	v_add_f32_e32 v30, v30, v165
	v_add_f32_e32 v31, v31, v170
	v_fmac_f32_e32 v35, 0x3f5db3d7, v36
	v_fmac_f32_e32 v33, 0xbf5db3d7, v36
	s_waitcnt vmcnt(0)
	ds_write2_b64 v0, v[30:31], v[34:35] offset1:17
	ds_write_b64 v0, v[32:33] offset:272
	buffer_load_dword v0, off, s[24:27], 0 offset:172 ; 4-byte Folded Reload
	v_add_f32_e32 v37, v171, v173
	v_mul_f32_e32 v185, v39, v236
	v_add_f32_e32 v36, v180, v171
	v_fma_f32 v180, -0.5, v37, v180
	v_fmac_f32_e32 v185, v38, v235
	v_sub_f32_e32 v37, v172, v174
	v_mov_b32_e32 v38, v180
	v_add_f32_e32 v39, v172, v174
	v_fmac_f32_e32 v38, 0xbf5db3d7, v37
	v_fmac_f32_e32 v180, 0x3f5db3d7, v37
	v_add_f32_e32 v37, v181, v172
	v_fmac_f32_e32 v181, -0.5, v39
	v_sub_f32_e32 v40, v171, v173
	v_mov_b32_e32 v39, v181
	v_add_f32_e32 v36, v36, v173
	v_add_f32_e32 v37, v37, v174
	v_fmac_f32_e32 v39, 0x3f5db3d7, v40
	v_fmac_f32_e32 v181, 0xbf5db3d7, v40
	s_waitcnt vmcnt(0)
	ds_write2_b64 v0, v[36:37], v[38:39] offset1:17
	ds_write_b64 v0, v[180:181] offset:272
	buffer_load_dword v0, off, s[24:27], 0 offset:176 ; 4-byte Folded Reload
	v_add_f32_e32 v41, v175, v177
	v_fma_f32 v42, -0.5, v41, v190
	v_add_f32_e32 v43, v176, v182
	v_sub_f32_e32 v41, v176, v182
	v_mov_b32_e32 v138, v42
	v_fma_f32 v43, -0.5, v43, v191
	v_add_f32_e32 v40, v190, v175
	v_fmac_f32_e32 v138, 0xbf5db3d7, v41
	v_fmac_f32_e32 v42, 0x3f5db3d7, v41
	v_add_f32_e32 v41, v191, v176
	v_sub_f32_e32 v144, v175, v177
	v_mov_b32_e32 v139, v43
	v_add_f32_e32 v40, v40, v177
	v_add_f32_e32 v41, v41, v182
	v_fmac_f32_e32 v139, 0x3f5db3d7, v144
	v_fmac_f32_e32 v43, 0xbf5db3d7, v144
	s_waitcnt vmcnt(0)
	ds_write2_b64 v0, v[40:41], v[138:139] offset1:17
	ds_write_b64 v0, v[42:43] offset:272
	buffer_load_dword v0, off, s[24:27], 0 offset:180 ; 4-byte Folded Reload
	v_add_f32_e32 v145, v183, v185
	v_add_f32_e32 v144, v192, v183
	v_fma_f32 v192, -0.5, v145, v192
	v_sub_f32_e32 v145, v184, v186
	v_mov_b32_e32 v146, v192
	v_add_f32_e32 v147, v184, v186
	v_fmac_f32_e32 v146, 0xbf5db3d7, v145
	v_fmac_f32_e32 v192, 0x3f5db3d7, v145
	v_add_f32_e32 v145, v193, v184
	v_fmac_f32_e32 v193, -0.5, v147
	v_sub_f32_e32 v148, v183, v185
	v_mov_b32_e32 v147, v193
	v_add_f32_e32 v144, v144, v185
	v_add_f32_e32 v145, v145, v186
	v_fmac_f32_e32 v147, 0x3f5db3d7, v148
	v_fmac_f32_e32 v193, 0xbf5db3d7, v148
	s_waitcnt vmcnt(0)
	ds_write2_b64 v0, v[144:145], v[146:147] offset1:17
	ds_write_b64 v0, v[192:193] offset:272
	buffer_load_dword v0, off, s[24:27], 0 offset:184 ; 4-byte Folded Reload
	v_add_f32_e32 v149, v187, v189
	v_add_f32_e32 v148, v142, v187
	v_fma_f32 v142, -0.5, v149, v142
	v_sub_f32_e32 v149, v188, v194
	v_mov_b32_e32 v150, v142
	v_add_f32_e32 v151, v188, v194
	v_fmac_f32_e32 v150, 0xbf5db3d7, v149
	v_fmac_f32_e32 v142, 0x3f5db3d7, v149
	v_add_f32_e32 v149, v143, v188
	v_fmac_f32_e32 v143, -0.5, v151
	v_sub_f32_e32 v152, v187, v189
	v_mov_b32_e32 v151, v143
	v_add_f32_e32 v148, v148, v189
	v_add_f32_e32 v149, v149, v194
	v_fmac_f32_e32 v151, 0x3f5db3d7, v152
	v_fmac_f32_e32 v143, 0xbf5db3d7, v152
	s_waitcnt vmcnt(0)
	ds_write2_b64 v0, v[148:149], v[150:151] offset1:17
	ds_write_b64 v0, v[142:143] offset:272
	s_waitcnt lgkmcnt(0)
	; wave barrier
	s_waitcnt lgkmcnt(0)
	ds_read2_b64 v[4:7], v237 offset1:51
	ds_read2_b64 v[0:3], v237 offset0:102 offset1:153
	ds_read2_b64 v[8:11], v137 offset0:50 offset1:101
	;; [unrolled: 1-line block ×15, first 2 shown]
	ds_read_b64 v[165:166], v237 offset:13056
	s_waitcnt lgkmcnt(14)
	v_mul_f32_e32 v167, v57, v3
	v_fmac_f32_e32 v167, v56, v2
	v_mul_f32_e32 v2, v57, v2
	v_fma_f32 v168, v56, v3, -v2
	v_mul_f32_e32 v169, v59, v9
	v_mul_f32_e32 v2, v59, v8
	v_fmac_f32_e32 v169, v58, v8
	v_fma_f32 v8, v58, v9, -v2
	s_waitcnt lgkmcnt(13)
	v_mul_f32_e32 v9, v53, v15
	v_mul_f32_e32 v2, v53, v14
	v_fmac_f32_e32 v9, v52, v14
	v_fma_f32 v14, v52, v15, -v2
	s_waitcnt lgkmcnt(12)
	;; [unrolled: 5-line block ×5, first 2 shown]
	v_mul_f32_e32 v2, v45, v36
	v_fma_f32 v170, v44, v37, -v2
	s_waitcnt lgkmcnt(8)
	v_mul_f32_e32 v2, v47, v28
	v_fma_f32 v172, v46, v29, -v2
	s_waitcnt lgkmcnt(7)
	v_mul_f32_e32 v173, v61, v144
	v_mul_f32_e32 v2, v61, v143
	v_fmac_f32_e32 v173, v60, v143
	v_fma_f32 v143, v60, v144, -v2
	s_waitcnt lgkmcnt(6)
	v_mul_f32_e32 v2, v63, v38
	v_fma_f32 v174, v62, v39, -v2
	s_waitcnt lgkmcnt(5)
	v_mul_f32_e32 v175, v57, v146
	v_mul_f32_e32 v2, v57, v145
	v_fmac_f32_e32 v175, v56, v145
	v_fma_f32 v145, v56, v146, -v2
	v_mul_f32_e32 v2, v59, v10
	v_fma_f32 v139, v58, v11, -v2
	s_waitcnt lgkmcnt(4)
	v_mul_f32_e32 v2, v53, v149
	v_mul_f32_e32 v56, v53, v150
	v_fma_f32 v57, v52, v150, -v2
	v_mul_f32_e32 v53, v55, v19
	v_mul_f32_e32 v2, v55, v18
	v_fmac_f32_e32 v56, v52, v149
	v_fmac_f32_e32 v53, v54, v18
	v_fma_f32 v54, v54, v19, -v2
	s_waitcnt lgkmcnt(3)
	v_mul_f32_e32 v52, v49, v154
	v_mul_f32_e32 v2, v49, v153
	v_fmac_f32_e32 v52, v48, v153
	v_fma_f32 v48, v48, v154, -v2
	v_mul_f32_e32 v49, v51, v27
	v_mul_f32_e32 v2, v51, v26
	v_fmac_f32_e32 v49, v50, v26
	v_fma_f32 v50, v50, v27, -v2
	s_waitcnt lgkmcnt(2)
	v_mul_f32_e32 v2, v45, v157
	v_fma_f32 v55, v44, v158, -v2
	v_mul_f32_e32 v2, v47, v30
	v_mul_f32_e32 v138, v59, v11
	v_fma_f32 v59, v46, v31, -v2
	s_waitcnt lgkmcnt(1)
	v_mul_f32_e32 v140, v61, v162
	v_mul_f32_e32 v2, v61, v161
	;; [unrolled: 1-line block ×3, first 2 shown]
	v_fmac_f32_e32 v140, v60, v161
	v_fma_f32 v60, v60, v162, -v2
	v_mul_f32_e32 v61, v63, v41
	v_mul_f32_e32 v2, v63, v40
	v_fmac_f32_e32 v144, v62, v38
	v_fmac_f32_e32 v61, v62, v40
	v_fma_f32 v62, v62, v41, -v2
	v_mul_f32_e32 v2, v77, v147
	v_mul_f32_e32 v25, v45, v37
	;; [unrolled: 1-line block ×3, first 2 shown]
	v_fma_f32 v45, v76, v148, -v2
	v_mul_f32_e32 v2, v79, v12
	v_fma_f32 v41, v78, v13, -v2
	v_mul_f32_e32 v2, v73, v151
	;; [unrolled: 2-line block ×4, first 2 shown]
	v_mul_f32_e32 v171, v47, v29
	v_fmac_f32_e32 v138, v58, v10
	v_mul_f32_e32 v58, v47, v31
	v_fma_f32 v29, v68, v156, -v2
	v_mul_f32_e32 v2, v71, v34
	v_fmac_f32_e32 v58, v46, v30
	v_mul_f32_e32 v32, v75, v21
	v_mul_f32_e32 v30, v71, v35
	v_fma_f32 v31, v70, v35, -v2
	v_mul_f32_e32 v2, v65, v159
	v_add_f32_e32 v11, v168, v174
	v_fmac_f32_e32 v25, v44, v36
	v_fmac_f32_e32 v171, v46, v28
	v_mul_f32_e32 v40, v79, v13
	v_mul_f32_e32 v36, v73, v152
	v_fmac_f32_e32 v32, v74, v20
	v_mul_f32_e32 v28, v69, v156
	v_fmac_f32_e32 v30, v70, v34
	v_mul_f32_e32 v34, v65, v160
	v_fma_f32 v35, v64, v160, -v2
	v_mul_f32_e32 v38, v67, v142
	v_mul_f32_e32 v2, v67, v141
	;; [unrolled: 1-line block ×7, first 2 shown]
	v_fmac_f32_e32 v40, v78, v12
	v_fmac_f32_e32 v36, v72, v151
	;; [unrolled: 1-line block ×4, first 2 shown]
	v_sub_f32_e32 v12, v167, v144
	v_sub_f32_e32 v13, v168, v174
	v_mov_b32_e32 v21, v20
	v_mov_b32_e32 v64, v63
	;; [unrolled: 1-line block ×5, first 2 shown]
	v_add_f32_e32 v3, v5, v168
	v_mul_f32_e32 v18, 0xbf0a6770, v13
	v_fmac_f32_e32 v21, 0x3f0a6770, v12
	v_fmac_f32_e32 v20, 0xbf0a6770, v12
	v_mul_f32_e32 v26, 0xbf68dda4, v13
	v_fmac_f32_e32 v64, 0x3f68dda4, v12
	v_fmac_f32_e32 v63, 0xbf68dda4, v12
	;; [unrolled: 3-line block ×5, first 2 shown]
	v_fmac_f32_e32 v38, v66, v141
	v_fma_f32 v39, v66, v142, -v2
	v_mul_f32_e32 v2, v81, v163
	v_add_f32_e32 v3, v3, v8
	v_add_f32_e32 v10, v167, v144
	v_mov_b32_e32 v19, v18
	v_add_f32_e32 v21, v5, v21
	v_add_f32_e32 v20, v5, v20
	v_mov_b32_e32 v27, v26
	;; [unrolled: 3-line block ×5, first 2 shown]
	v_add_f32_e32 v74, v5, v74
	v_add_f32_e32 v5, v5, v11
	;; [unrolled: 1-line block ×3, first 2 shown]
	v_sub_f32_e32 v8, v8, v143
	v_fma_f32 v43, v80, v164, -v2
	s_waitcnt lgkmcnt(0)
	v_mul_f32_e32 v2, v83, v165
	v_fmac_f32_e32 v19, 0x3f575c64, v10
	v_fma_f32 v18, v10, s4, -v18
	v_fmac_f32_e32 v27, 0x3ed4b147, v10
	v_fma_f32 v26, v10, s2, -v26
	;; [unrolled: 2-line block ×5, first 2 shown]
	v_mul_f32_e32 v13, 0xbf68dda4, v8
	v_fma_f32 v47, v82, v166, -v2
	v_add_f32_e32 v2, v4, v167
	v_add_f32_e32 v19, v4, v19
	;; [unrolled: 1-line block ×12, first 2 shown]
	v_mov_b32_e32 v75, v13
	v_fmac_f32_e32 v75, 0x3ed4b147, v10
	v_fmac_f32_e32 v51, v44, v157
	v_mul_f32_e32 v44, v77, v148
	v_sub_f32_e32 v12, v169, v173
	v_add_f32_e32 v19, v75, v19
	v_mul_f32_e32 v75, 0x3ed4b147, v11
	v_fmac_f32_e32 v44, v76, v147
	v_mov_b32_e32 v76, v75
	v_fma_f32 v13, v10, s2, -v13
	v_fmac_f32_e32 v75, 0xbf68dda4, v12
	v_add_f32_e32 v13, v13, v18
	v_add_f32_e32 v18, v75, v20
	v_mul_f32_e32 v20, 0xbf4178ce, v8
	v_mov_b32_e32 v75, v20
	v_fmac_f32_e32 v75, 0xbf27a4f4, v10
	v_fmac_f32_e32 v76, 0x3f68dda4, v12
	v_add_f32_e32 v27, v75, v27
	v_mul_f32_e32 v75, 0xbf27a4f4, v11
	v_add_f32_e32 v21, v76, v21
	v_mov_b32_e32 v76, v75
	v_fma_f32 v20, v10, s5, -v20
	v_fmac_f32_e32 v75, 0xbf4178ce, v12
	v_add_f32_e32 v20, v20, v26
	v_add_f32_e32 v26, v75, v63
	v_mul_f32_e32 v63, 0x3e903f40, v8
	v_mov_b32_e32 v75, v63
	v_fmac_f32_e32 v75, 0xbf75a155, v10
	v_fmac_f32_e32 v76, 0x3f4178ce, v12
	v_add_f32_e32 v66, v75, v66
	v_mul_f32_e32 v75, 0xbf75a155, v11
	v_add_f32_e32 v64, v76, v64
	;; [unrolled: 12-line block ×3, first 2 shown]
	v_mov_b32_e32 v76, v75
	v_fma_f32 v67, v10, s3, -v67
	v_fmac_f32_e32 v75, 0x3f7d64f0, v12
	v_mul_f32_e32 v8, 0x3f0a6770, v8
	v_add_f32_e32 v67, v67, v69
	v_add_f32_e32 v69, v75, v71
	v_mov_b32_e32 v71, v8
	v_fmac_f32_e32 v71, 0x3f575c64, v10
	v_mul_f32_e32 v11, 0x3f575c64, v11
	v_add_f32_e32 v71, v71, v73
	v_mov_b32_e32 v73, v11
	v_fmac_f32_e32 v11, 0x3f0a6770, v12
	v_add_f32_e32 v5, v11, v5
	v_sub_f32_e32 v11, v14, v172
	v_fmac_f32_e32 v76, 0xbf7d64f0, v12
	v_fmac_f32_e32 v73, 0xbf0a6770, v12
	v_fma_f32 v8, v10, s4, -v8
	v_mul_f32_e32 v12, 0xbf7d64f0, v11
	v_add_f32_e32 v3, v3, v14
	v_add_f32_e32 v4, v8, v4
	;; [unrolled: 1-line block ×4, first 2 shown]
	v_mov_b32_e32 v14, v12
	v_add_f32_e32 v2, v2, v169
	v_fmac_f32_e32 v14, 0xbe11bafb, v8
	v_add_f32_e32 v2, v2, v9
	v_sub_f32_e32 v9, v9, v171
	v_add_f32_e32 v14, v14, v19
	v_mul_f32_e32 v19, 0xbe11bafb, v10
	v_add_f32_e32 v73, v73, v74
	v_mov_b32_e32 v74, v19
	v_fma_f32 v12, v8, s3, -v12
	v_fmac_f32_e32 v19, 0xbf7d64f0, v9
	v_add_f32_e32 v12, v12, v13
	v_add_f32_e32 v13, v19, v18
	v_mul_f32_e32 v18, 0x3e903f40, v11
	v_mov_b32_e32 v19, v18
	v_fmac_f32_e32 v19, 0xbf75a155, v8
	v_fmac_f32_e32 v74, 0x3f7d64f0, v9
	v_add_f32_e32 v19, v19, v27
	v_mul_f32_e32 v27, 0xbf75a155, v10
	v_add_f32_e32 v21, v74, v21
	v_mov_b32_e32 v74, v27
	v_fma_f32 v18, v8, s10, -v18
	v_fmac_f32_e32 v27, 0x3e903f40, v9
	v_add_f32_e32 v18, v18, v20
	v_add_f32_e32 v20, v27, v26
	v_mul_f32_e32 v26, 0x3f68dda4, v11
	v_mov_b32_e32 v27, v26
	v_fmac_f32_e32 v27, 0x3ed4b147, v8
	v_fmac_f32_e32 v74, 0xbe903f40, v9
	;; [unrolled: 12-line block ×3, first 2 shown]
	v_add_f32_e32 v66, v66, v70
	v_mul_f32_e32 v70, 0x3f575c64, v10
	v_add_f32_e32 v68, v74, v68
	v_mov_b32_e32 v74, v70
	v_fma_f32 v65, v8, s4, -v65
	v_fmac_f32_e32 v70, 0xbf0a6770, v9
	v_mul_f32_e32 v11, 0xbf4178ce, v11
	v_add_f32_e32 v65, v65, v67
	v_add_f32_e32 v67, v70, v69
	v_mov_b32_e32 v69, v11
	v_mul_f32_e32 v10, 0xbf27a4f4, v10
	v_fmac_f32_e32 v69, 0xbf27a4f4, v8
	v_mov_b32_e32 v70, v10
	v_fma_f32 v8, v8, s5, -v11
	v_fmac_f32_e32 v10, 0xbf4178ce, v9
	v_sub_f32_e32 v11, v16, v170
	v_add_f32_e32 v2, v2, v15
	v_add_f32_e32 v4, v8, v4
	;; [unrolled: 1-line block ×4, first 2 shown]
	v_sub_f32_e32 v10, v15, v25
	v_mul_f32_e32 v15, 0xbf4178ce, v11
	v_add_f32_e32 v3, v3, v16
	v_fmac_f32_e32 v74, 0x3f0a6770, v9
	v_fmac_f32_e32 v70, 0x3f4178ce, v9
	v_add_f32_e32 v9, v16, v170
	v_mov_b32_e32 v16, v15
	v_add_f32_e32 v2, v2, v17
	v_fmac_f32_e32 v16, 0xbf27a4f4, v8
	v_add_f32_e32 v2, v2, v23
	v_add_f32_e32 v14, v16, v14
	v_mul_f32_e32 v16, 0xbf27a4f4, v9
	v_fma_f32 v15, v8, s5, -v15
	v_add_f32_e32 v2, v2, v25
	v_mov_b32_e32 v25, v16
	v_add_f32_e32 v12, v15, v12
	v_fmac_f32_e32 v16, 0xbf4178ce, v10
	v_mul_f32_e32 v15, 0x3f7d64f0, v11
	v_add_f32_e32 v13, v16, v13
	v_mov_b32_e32 v16, v15
	v_fmac_f32_e32 v16, 0xbe11bafb, v8
	v_fmac_f32_e32 v25, 0x3f4178ce, v10
	v_add_f32_e32 v16, v16, v19
	v_mul_f32_e32 v19, 0xbe11bafb, v9
	v_add_f32_e32 v21, v25, v21
	v_mov_b32_e32 v25, v19
	v_fma_f32 v15, v8, s3, -v15
	v_fmac_f32_e32 v19, 0x3f7d64f0, v10
	v_add_f32_e32 v15, v15, v18
	v_add_f32_e32 v18, v19, v20
	v_mul_f32_e32 v19, 0xbf0a6770, v11
	v_mov_b32_e32 v20, v19
	v_fmac_f32_e32 v20, 0x3f575c64, v8
	v_fmac_f32_e32 v25, 0xbf7d64f0, v10
	v_add_f32_e32 v20, v20, v27
	v_mul_f32_e32 v27, 0x3f575c64, v9
	v_add_f32_e32 v25, v25, v64
	v_mov_b32_e32 v64, v27
	v_fma_f32 v19, v8, s4, -v19
	v_fmac_f32_e32 v27, 0xbf0a6770, v10
	v_add_f32_e32 v19, v19, v26
	v_add_f32_e32 v26, v27, v63
	v_mul_f32_e32 v27, 0xbe903f40, v11
	v_mov_b32_e32 v63, v27
	v_fmac_f32_e32 v63, 0xbf75a155, v8
	v_fmac_f32_e32 v64, 0x3f0a6770, v10
	v_add_f32_e32 v63, v63, v66
	v_mul_f32_e32 v66, 0xbf75a155, v9
	v_add_f32_e32 v72, v76, v72
	v_add_f32_e32 v64, v64, v68
	v_mov_b32_e32 v68, v66
	v_fma_f32 v27, v8, s10, -v27
	v_fmac_f32_e32 v66, 0xbe903f40, v10
	v_mul_f32_e32 v11, 0x3f68dda4, v11
	v_add_f32_e32 v72, v74, v72
	v_fmac_f32_e32 v68, 0x3e903f40, v10
	v_add_f32_e32 v27, v27, v65
	v_add_f32_e32 v65, v66, v67
	v_mov_b32_e32 v66, v11
	v_mul_f32_e32 v9, 0x3ed4b147, v9
	v_add_f32_e32 v3, v3, v22
	v_add_f32_e32 v69, v69, v71
	;; [unrolled: 1-line block ×3, first 2 shown]
	v_fmac_f32_e32 v66, 0x3ed4b147, v8
	v_mov_b32_e32 v67, v9
	v_fma_f32 v8, v8, s2, -v11
	v_add_f32_e32 v72, v22, v24
	v_sub_f32_e32 v22, v22, v24
	v_add_f32_e32 v70, v70, v73
	v_add_f32_e32 v66, v66, v69
	v_fmac_f32_e32 v67, 0xbf68dda4, v10
	v_add_f32_e32 v69, v8, v4
	v_fmac_f32_e32 v9, 0x3f68dda4, v10
	v_mul_f32_e32 v4, 0xbe903f40, v22
	v_add_f32_e32 v67, v67, v70
	v_add_f32_e32 v70, v9, v5
	;; [unrolled: 1-line block ×3, first 2 shown]
	v_mov_b32_e32 v5, v4
	v_fmac_f32_e32 v5, 0xbf75a155, v71
	v_add_f32_e32 v10, v5, v14
	v_mul_f32_e32 v5, 0xbf75a155, v72
	v_sub_f32_e32 v73, v17, v23
	v_mov_b32_e32 v8, v5
	v_fmac_f32_e32 v8, 0x3e903f40, v73
	v_add_f32_e32 v11, v8, v21
	v_mul_f32_e32 v8, 0x3f0a6770, v22
	v_mov_b32_e32 v9, v8
	v_fma_f32 v8, v71, s4, -v8
	v_mul_f32_e32 v14, 0xbf4178ce, v22
	v_fma_f32 v4, v71, s10, -v4
	v_fmac_f32_e32 v9, 0x3f575c64, v71
	v_add_f32_e32 v8, v8, v15
	v_mov_b32_e32 v15, v14
	v_add_f32_e32 v4, v4, v12
	v_fmac_f32_e32 v5, 0xbe903f40, v73
	v_add_f32_e32 v12, v9, v16
	v_mul_f32_e32 v9, 0x3f575c64, v72
	v_fmac_f32_e32 v15, 0xbf27a4f4, v71
	v_add_f32_e32 v5, v5, v13
	v_mov_b32_e32 v13, v9
	v_fmac_f32_e32 v9, 0x3f0a6770, v73
	v_add_f32_e32 v16, v15, v20
	v_mul_f32_e32 v20, 0x3f68dda4, v22
	v_add_f32_e32 v9, v9, v18
	v_mov_b32_e32 v18, v20
	v_fma_f32 v20, v71, s2, -v20
	v_add_f32_e32 v20, v20, v27
	v_add_f32_e32 v27, v7, v145
	v_mul_f32_e32 v15, 0xbf27a4f4, v72
	v_add_f32_e32 v27, v27, v139
	v_mov_b32_e32 v17, v15
	v_fmac_f32_e32 v15, 0xbf4178ce, v73
	v_add_f32_e32 v27, v27, v57
	v_add_f32_e32 v15, v15, v26
	;; [unrolled: 1-line block ×10, first 2 shown]
	v_fmac_f32_e32 v13, 0xbf0a6770, v73
	v_add_f32_e32 v26, v26, v52
	v_add_f32_e32 v27, v27, v59
	;; [unrolled: 1-line block ×4, first 2 shown]
	v_fmac_f32_e32 v17, 0x3f4178ce, v73
	v_fma_f32 v14, v71, s5, -v14
	v_mul_f32_e32 v21, 0x3ed4b147, v72
	v_mul_f32_e32 v24, 0xbf7d64f0, v22
	;; [unrolled: 1-line block ×3, first 2 shown]
	v_add_f32_e32 v26, v26, v49
	v_add_f32_e32 v27, v27, v60
	v_add_f32_e32 v17, v17, v64
	v_add_f32_e32 v14, v14, v19
	v_mov_b32_e32 v19, v21
	v_fmac_f32_e32 v21, 0x3f68dda4, v73
	v_mov_b32_e32 v22, v24
	v_mov_b32_e32 v23, v25
	v_fma_f32 v24, v71, s3, -v24
	v_add_f32_e32 v26, v26, v51
	v_add_f32_e32 v27, v27, v62
	v_add_f32_e32 v64, v145, v62
	v_sub_f32_e32 v62, v145, v62
	v_fmac_f32_e32 v18, 0x3ed4b147, v71
	v_fmac_f32_e32 v19, 0xbf68dda4, v73
	v_add_f32_e32 v21, v21, v65
	v_fmac_f32_e32 v22, 0xbe11bafb, v71
	v_fmac_f32_e32 v23, 0x3f7d64f0, v73
	v_add_f32_e32 v24, v24, v69
	v_fmac_f32_e32 v25, 0xbf7d64f0, v73
	v_add_f32_e32 v26, v26, v58
	v_mul_f32_e32 v65, 0xbf0a6770, v62
	v_mul_f32_e32 v69, 0xbf68dda4, v62
	;; [unrolled: 1-line block ×7, first 2 shown]
	v_add_f32_e32 v18, v18, v63
	v_add_f32_e32 v22, v22, v66
	;; [unrolled: 1-line block ×6, first 2 shown]
	v_mov_b32_e32 v66, v65
	v_mul_f32_e32 v67, 0x3f575c64, v64
	v_mov_b32_e32 v70, v69
	v_mul_f32_e32 v71, 0x3ed4b147, v64
	;; [unrolled: 2-line block ×5, first 2 shown]
	v_fmac_f32_e32 v42, v80, v163
	v_fmac_f32_e32 v46, v82, v165
	v_add_f32_e32 v19, v19, v68
	v_add_f32_e32 v26, v26, v61
	v_sub_f32_e32 v61, v175, v61
	v_fmac_f32_e32 v66, 0x3f575c64, v63
	v_mov_b32_e32 v68, v67
	v_fma_f32 v65, v63, s4, -v65
	v_fmac_f32_e32 v70, 0x3ed4b147, v63
	v_mov_b32_e32 v72, v71
	v_fma_f32 v69, v63, s2, -v69
	v_fmac_f32_e32 v74, 0xbe11bafb, v63
	v_mov_b32_e32 v76, v75
	v_fma_f32 v73, v63, s3, -v73
	v_fmac_f32_e32 v78, 0xbf27a4f4, v63
	v_mov_b32_e32 v80, v79
	v_fma_f32 v77, v63, s5, -v77
	v_fmac_f32_e32 v81, 0xbf75a155, v63
	v_mov_b32_e32 v82, v64
	v_fma_f32 v62, v63, s10, -v62
	v_add_f32_e32 v66, v6, v66
	v_fmac_f32_e32 v68, 0x3f0a6770, v61
	v_add_f32_e32 v65, v6, v65
	v_fmac_f32_e32 v67, 0xbf0a6770, v61
	;; [unrolled: 2-line block ×10, first 2 shown]
	v_add_f32_e32 v62, v139, v60
	v_sub_f32_e32 v60, v139, v60
	v_add_f32_e32 v68, v7, v68
	v_add_f32_e32 v67, v7, v67
	v_add_f32_e32 v72, v7, v72
	v_add_f32_e32 v71, v7, v71
	v_add_f32_e32 v76, v7, v76
	v_add_f32_e32 v75, v7, v75
	v_add_f32_e32 v80, v7, v80
	v_add_f32_e32 v79, v7, v79
	v_add_f32_e32 v82, v7, v82
	v_add_f32_e32 v7, v7, v64
	v_mul_f32_e32 v64, 0xbf68dda4, v60
	v_add_f32_e32 v61, v138, v140
	v_mov_b32_e32 v83, v64
	v_fmac_f32_e32 v83, 0x3ed4b147, v61
	v_sub_f32_e32 v63, v138, v140
	v_add_f32_e32 v66, v83, v66
	v_mul_f32_e32 v83, 0x3ed4b147, v62
	v_mov_b32_e32 v138, v83
	v_fma_f32 v64, v61, s2, -v64
	v_fmac_f32_e32 v83, 0xbf68dda4, v63
	v_add_f32_e32 v64, v64, v65
	v_add_f32_e32 v65, v83, v67
	v_mul_f32_e32 v67, 0xbf4178ce, v60
	v_mov_b32_e32 v83, v67
	v_fmac_f32_e32 v83, 0xbf27a4f4, v61
	v_fmac_f32_e32 v138, 0x3f68dda4, v63
	v_add_f32_e32 v70, v83, v70
	v_mul_f32_e32 v83, 0xbf27a4f4, v62
	v_add_f32_e32 v68, v138, v68
	v_mov_b32_e32 v138, v83
	v_fma_f32 v67, v61, s5, -v67
	v_fmac_f32_e32 v83, 0xbf4178ce, v63
	v_add_f32_e32 v67, v67, v69
	v_add_f32_e32 v69, v83, v71
	v_mul_f32_e32 v71, 0x3e903f40, v60
	v_mov_b32_e32 v83, v71
	v_fmac_f32_e32 v83, 0xbf75a155, v61
	v_fmac_f32_e32 v138, 0x3f4178ce, v63
	v_add_f32_e32 v74, v83, v74
	v_mul_f32_e32 v83, 0xbf75a155, v62
	v_add_f32_e32 v72, v138, v72
	;; [unrolled: 12-line block ×3, first 2 shown]
	v_mov_b32_e32 v138, v83
	v_fma_f32 v75, v61, s3, -v75
	v_fmac_f32_e32 v83, 0x3f7d64f0, v63
	v_mul_f32_e32 v60, 0x3f0a6770, v60
	v_add_f32_e32 v75, v75, v77
	v_add_f32_e32 v77, v83, v79
	v_mov_b32_e32 v79, v60
	v_fmac_f32_e32 v79, 0x3f575c64, v61
	v_mul_f32_e32 v62, 0x3f575c64, v62
	v_fma_f32 v60, v61, s4, -v60
	v_add_f32_e32 v61, v57, v59
	v_sub_f32_e32 v57, v57, v59
	v_add_f32_e32 v79, v79, v81
	v_mov_b32_e32 v81, v62
	v_add_f32_e32 v6, v60, v6
	v_fmac_f32_e32 v62, 0x3f0a6770, v63
	v_add_f32_e32 v60, v56, v58
	v_sub_f32_e32 v56, v56, v58
	v_mul_f32_e32 v58, 0xbf7d64f0, v57
	v_add_f32_e32 v7, v62, v7
	v_mov_b32_e32 v59, v58
	v_mul_f32_e32 v62, 0xbe11bafb, v61
	v_fma_f32 v58, v60, s3, -v58
	v_fmac_f32_e32 v138, 0xbf7d64f0, v63
	v_fmac_f32_e32 v81, 0xbf0a6770, v63
	v_fmac_f32_e32 v59, 0xbe11bafb, v60
	v_mov_b32_e32 v63, v62
	v_add_f32_e32 v58, v58, v64
	v_fmac_f32_e32 v62, 0xbf7d64f0, v56
	v_mul_f32_e32 v64, 0x3e903f40, v57
	v_add_f32_e32 v59, v59, v66
	v_fmac_f32_e32 v63, 0x3f7d64f0, v56
	v_add_f32_e32 v62, v62, v65
	v_mov_b32_e32 v65, v64
	v_mul_f32_e32 v66, 0xbf75a155, v61
	v_fma_f32 v64, v60, s10, -v64
	v_add_f32_e32 v63, v63, v68
	v_fmac_f32_e32 v65, 0xbf75a155, v60
	v_mov_b32_e32 v68, v66
	v_add_f32_e32 v64, v64, v67
	v_fmac_f32_e32 v66, 0x3e903f40, v56
	v_mul_f32_e32 v67, 0x3f68dda4, v57
	v_add_f32_e32 v65, v65, v70
	v_fmac_f32_e32 v68, 0xbe903f40, v56
	v_add_f32_e32 v66, v66, v69
	v_mov_b32_e32 v69, v67
	v_mul_f32_e32 v70, 0x3ed4b147, v61
	v_add_f32_e32 v68, v68, v72
	v_fmac_f32_e32 v69, 0x3ed4b147, v60
	v_mov_b32_e32 v72, v70
	v_add_f32_e32 v69, v69, v74
	v_fmac_f32_e32 v72, 0xbf68dda4, v56
	v_fma_f32 v67, v60, s2, -v67
	v_mul_f32_e32 v74, 0x3f575c64, v61
	v_add_f32_e32 v72, v72, v76
	v_add_f32_e32 v67, v67, v71
	v_fmac_f32_e32 v70, 0x3f68dda4, v56
	v_mul_f32_e32 v71, 0xbf0a6770, v57
	v_mov_b32_e32 v76, v74
	v_fmac_f32_e32 v74, 0xbf0a6770, v56
	v_mul_f32_e32 v61, 0xbf27a4f4, v61
	v_add_f32_e32 v70, v70, v73
	v_mov_b32_e32 v73, v71
	v_fma_f32 v71, v60, s4, -v71
	v_add_f32_e32 v74, v74, v77
	v_mul_f32_e32 v57, 0xbf4178ce, v57
	v_mov_b32_e32 v77, v61
	v_fmac_f32_e32 v76, 0x3f0a6770, v56
	v_add_f32_e32 v71, v71, v75
	v_mov_b32_e32 v75, v57
	v_fmac_f32_e32 v77, 0x3f4178ce, v56
	v_fma_f32 v57, v60, s5, -v57
	v_fmac_f32_e32 v61, 0xbf4178ce, v56
	v_add_f32_e32 v56, v53, v51
	v_sub_f32_e32 v51, v53, v51
	v_sub_f32_e32 v53, v54, v55
	v_add_f32_e32 v6, v57, v6
	v_add_f32_e32 v57, v54, v55
	v_mul_f32_e32 v54, 0xbf4178ce, v53
	v_mov_b32_e32 v55, v54
	v_fmac_f32_e32 v55, 0xbf27a4f4, v56
	v_add_f32_e32 v55, v55, v59
	v_mul_f32_e32 v59, 0xbf27a4f4, v57
	v_fmac_f32_e32 v73, 0x3f575c64, v60
	v_fmac_f32_e32 v75, 0xbf27a4f4, v60
	v_mov_b32_e32 v60, v59
	v_fma_f32 v54, v56, s5, -v54
	v_fmac_f32_e32 v59, 0xbf4178ce, v51
	v_add_f32_e32 v54, v54, v58
	v_add_f32_e32 v58, v59, v62
	v_mul_f32_e32 v59, 0x3f7d64f0, v53
	v_add_f32_e32 v7, v61, v7
	v_mov_b32_e32 v61, v59
	v_fma_f32 v59, v56, s3, -v59
	v_fmac_f32_e32 v60, 0x3f4178ce, v51
	v_fmac_f32_e32 v61, 0xbe11bafb, v56
	v_mul_f32_e32 v62, 0xbe11bafb, v57
	v_add_f32_e32 v59, v59, v64
	v_mul_f32_e32 v64, 0xbf0a6770, v53
	v_add_f32_e32 v60, v60, v63
	v_add_f32_e32 v61, v61, v65
	v_mov_b32_e32 v63, v62
	v_fmac_f32_e32 v62, 0x3f7d64f0, v51
	v_mov_b32_e32 v65, v64
	v_fma_f32 v64, v56, s4, -v64
	v_fmac_f32_e32 v63, 0xbf7d64f0, v51
	v_add_f32_e32 v62, v62, v66
	v_fmac_f32_e32 v65, 0x3f575c64, v56
	v_mul_f32_e32 v66, 0x3f575c64, v57
	v_add_f32_e32 v64, v64, v67
	v_mul_f32_e32 v67, 0xbe903f40, v53
	v_add_f32_e32 v63, v63, v68
	v_add_f32_e32 v65, v65, v69
	v_mov_b32_e32 v68, v66
	v_fmac_f32_e32 v66, 0xbf0a6770, v51
	v_mov_b32_e32 v69, v67
	v_add_f32_e32 v73, v73, v78
	v_fmac_f32_e32 v68, 0x3f0a6770, v51
	v_add_f32_e32 v66, v66, v70
	v_fmac_f32_e32 v69, 0xbf75a155, v56
	v_mul_f32_e32 v70, 0xbf75a155, v57
	v_mul_f32_e32 v57, 0x3ed4b147, v57
	v_add_f32_e32 v80, v138, v80
	v_add_f32_e32 v81, v81, v82
	;; [unrolled: 1-line block ×4, first 2 shown]
	v_mov_b32_e32 v72, v70
	v_mov_b32_e32 v73, v57
	v_add_f32_e32 v76, v76, v80
	v_add_f32_e32 v75, v75, v79
	;; [unrolled: 1-line block ×3, first 2 shown]
	v_fmac_f32_e32 v72, 0x3e903f40, v51
	v_fma_f32 v67, v56, s10, -v67
	v_mul_f32_e32 v53, 0x3f68dda4, v53
	v_fmac_f32_e32 v73, 0xbf68dda4, v51
	v_sub_f32_e32 v79, v48, v50
	v_add_f32_e32 v72, v72, v76
	v_add_f32_e32 v67, v67, v71
	v_fmac_f32_e32 v70, 0xbe903f40, v51
	v_mov_b32_e32 v71, v53
	v_add_f32_e32 v73, v73, v77
	v_fma_f32 v53, v56, s2, -v53
	v_add_f32_e32 v76, v52, v49
	v_add_f32_e32 v77, v48, v50
	v_mul_f32_e32 v48, 0xbe903f40, v79
	v_add_f32_e32 v70, v70, v74
	v_fmac_f32_e32 v71, 0x3ed4b147, v56
	v_add_f32_e32 v74, v53, v6
	v_fmac_f32_e32 v57, 0x3f68dda4, v51
	v_sub_f32_e32 v78, v52, v49
	v_mov_b32_e32 v6, v48
	v_mul_f32_e32 v49, 0xbf75a155, v77
	v_fma_f32 v48, v76, s10, -v48
	v_mul_f32_e32 v52, 0x3f0a6770, v79
	v_mul_f32_e32 v56, 0xbf4178ce, v79
	v_add_f32_e32 v71, v71, v75
	v_add_f32_e32 v75, v57, v7
	v_mov_b32_e32 v7, v49
	v_add_f32_e32 v48, v48, v54
	v_mov_b32_e32 v50, v52
	v_mul_f32_e32 v53, 0x3f575c64, v77
	v_mov_b32_e32 v54, v56
	v_add_f32_e32 v3, v3, v170
	v_fmac_f32_e32 v7, 0x3e903f40, v78
	v_fmac_f32_e32 v50, 0x3f575c64, v76
	v_mov_b32_e32 v51, v53
	v_fmac_f32_e32 v54, 0xbf27a4f4, v76
	v_fma_f32 v56, v76, s5, -v56
	v_add_f32_e32 v2, v2, v171
	v_add_f32_e32 v3, v3, v172
	v_fmac_f32_e32 v6, 0xbf75a155, v76
	v_add_f32_e32 v7, v7, v60
	v_fmac_f32_e32 v49, 0xbe903f40, v78
	;; [unrolled: 2-line block ×3, first 2 shown]
	v_fma_f32 v52, v76, s4, -v52
	v_fmac_f32_e32 v53, 0x3f0a6770, v78
	v_add_f32_e32 v54, v54, v65
	v_mul_f32_e32 v57, 0xbf27a4f4, v77
	v_add_f32_e32 v56, v56, v64
	v_mul_f32_e32 v60, 0x3f68dda4, v79
	v_mul_f32_e32 v61, 0x3ed4b147, v77
	;; [unrolled: 1-line block ×4, first 2 shown]
	v_add_f32_e32 v2, v2, v173
	v_add_f32_e32 v3, v3, v143
	;; [unrolled: 1-line block ×7, first 2 shown]
	v_mov_b32_e32 v55, v57
	v_mov_b32_e32 v58, v60
	;; [unrolled: 1-line block ×5, first 2 shown]
	v_add_f32_e32 v2, v2, v144
	v_add_f32_e32 v3, v3, v174
	v_fmac_f32_e32 v55, 0x3f4178ce, v78
	v_fmac_f32_e32 v57, 0xbf4178ce, v78
	;; [unrolled: 1-line block ×4, first 2 shown]
	v_fma_f32 v60, v76, s2, -v60
	v_fmac_f32_e32 v61, 0x3f68dda4, v78
	v_fmac_f32_e32 v62, 0xbe11bafb, v76
	;; [unrolled: 1-line block ×3, first 2 shown]
	v_fma_f32 v64, v76, s3, -v64
	v_fmac_f32_e32 v65, 0xbf7d64f0, v78
	v_add_f32_e32 v55, v55, v68
	v_add_f32_e32 v57, v57, v66
	;; [unrolled: 1-line block ×10, first 2 shown]
	s_waitcnt lgkmcnt(0)
	; wave barrier
	ds_write2_b64 v237, v[2:3], v[10:11] offset1:51
	ds_write2_b64 v237, v[12:13], v[16:17] offset0:102 offset1:153
	ds_write2_b64 v237, v[18:19], v[22:23] offset0:204 offset1:255
	;; [unrolled: 1-line block ×10, first 2 shown]
	buffer_load_dword v3, off, s[24:27], 0 offset:188 ; 4-byte Folded Reload
	v_add_f32_e32 v66, v0, v44
	v_add_f32_e32 v67, v1, v45
	;; [unrolled: 1-line block ×18, first 2 shown]
	v_sub_f32_e32 v45, v45, v47
	v_add_f32_e32 v67, v67, v43
	v_add_f32_e32 v66, v66, v46
	;; [unrolled: 1-line block ×3, first 2 shown]
	v_sub_f32_e32 v44, v44, v46
	v_mul_f32_e32 v46, 0xbf0a6770, v45
	v_mul_f32_e32 v72, 0xbf68dda4, v45
	;; [unrolled: 1-line block ×5, first 2 shown]
	v_add_f32_e32 v67, v67, v47
	v_mov_b32_e32 v47, v46
	v_mov_b32_e32 v73, v72
	;; [unrolled: 1-line block ×5, first 2 shown]
	v_fmac_f32_e32 v47, 0x3f575c64, v68
	v_mul_f32_e32 v70, 0x3f575c64, v69
	v_fma_f32 v46, v68, s4, -v46
	v_fmac_f32_e32 v73, 0x3ed4b147, v68
	v_mul_f32_e32 v74, 0x3ed4b147, v69
	v_fma_f32 v72, v68, s2, -v72
	;; [unrolled: 3-line block ×5, first 2 shown]
	v_add_f32_e32 v47, v0, v47
	v_mov_b32_e32 v71, v70
	v_add_f32_e32 v46, v0, v46
	v_add_f32_e32 v73, v0, v73
	v_mov_b32_e32 v75, v74
	v_add_f32_e32 v72, v0, v72
	;; [unrolled: 3-line block ×5, first 2 shown]
	v_add_f32_e32 v45, v41, v43
	v_sub_f32_e32 v41, v41, v43
	v_fmac_f32_e32 v71, 0x3f0a6770, v44
	v_fmac_f32_e32 v70, 0xbf0a6770, v44
	;; [unrolled: 1-line block ×10, first 2 shown]
	v_add_f32_e32 v44, v40, v42
	v_sub_f32_e32 v40, v40, v42
	v_mul_f32_e32 v42, 0xbf68dda4, v41
	v_mov_b32_e32 v43, v42
	v_fmac_f32_e32 v43, 0x3ed4b147, v44
	v_add_f32_e32 v43, v43, v47
	v_mul_f32_e32 v47, 0x3ed4b147, v45
	v_add_f32_e32 v70, v1, v70
	v_mov_b32_e32 v68, v47
	v_fma_f32 v42, v44, s2, -v42
	v_fmac_f32_e32 v47, 0xbf68dda4, v40
	v_add_f32_e32 v42, v42, v46
	v_add_f32_e32 v46, v47, v70
	v_mul_f32_e32 v47, 0xbf4178ce, v41
	v_add_f32_e32 v71, v1, v71
	v_add_f32_e32 v75, v1, v75
	v_add_f32_e32 v74, v1, v74
	v_add_f32_e32 v79, v1, v79
	v_add_f32_e32 v78, v1, v78
	v_add_f32_e32 v83, v1, v83
	v_add_f32_e32 v82, v1, v82
	v_add_f32_e32 v139, v1, v139
	v_add_f32_e32 v1, v1, v69
	v_mov_b32_e32 v69, v47
	v_fma_f32 v47, v44, s5, -v47
	v_fmac_f32_e32 v68, 0x3f68dda4, v40
	v_fmac_f32_e32 v69, 0xbf27a4f4, v44
	v_mul_f32_e32 v70, 0xbf27a4f4, v45
	v_add_f32_e32 v47, v47, v72
	v_mul_f32_e32 v72, 0x3e903f40, v41
	v_add_f32_e32 v68, v68, v71
	v_add_f32_e32 v69, v69, v73
	v_mov_b32_e32 v71, v70
	v_fmac_f32_e32 v70, 0xbf4178ce, v40
	v_mov_b32_e32 v73, v72
	v_fma_f32 v72, v44, s10, -v72
	v_fmac_f32_e32 v71, 0x3f4178ce, v40
	v_add_f32_e32 v70, v70, v74
	v_fmac_f32_e32 v73, 0xbf75a155, v44
	v_mul_f32_e32 v74, 0xbf75a155, v45
	v_add_f32_e32 v72, v72, v76
	v_mul_f32_e32 v76, 0x3f7d64f0, v41
	v_add_f32_e32 v71, v71, v75
	v_add_f32_e32 v73, v73, v77
	v_mov_b32_e32 v75, v74
	v_fmac_f32_e32 v74, 0x3e903f40, v40
	v_mov_b32_e32 v77, v76
	v_fma_f32 v76, v44, s3, -v76
	v_mul_f32_e32 v41, 0x3f0a6770, v41
	v_fmac_f32_e32 v75, 0xbe903f40, v40
	v_add_f32_e32 v74, v74, v78
	v_fmac_f32_e32 v77, 0xbe11bafb, v44
	v_mul_f32_e32 v78, 0xbe11bafb, v45
	v_add_f32_e32 v76, v76, v80
	v_mov_b32_e32 v80, v41
	v_mul_f32_e32 v45, 0x3f575c64, v45
	v_fma_f32 v41, v44, s4, -v41
	v_add_f32_e32 v75, v75, v79
	v_add_f32_e32 v77, v77, v81
	v_mov_b32_e32 v79, v78
	v_mov_b32_e32 v81, v45
	v_add_f32_e32 v0, v41, v0
	v_add_f32_e32 v41, v37, v39
	v_sub_f32_e32 v37, v37, v39
	v_fmac_f32_e32 v79, 0xbf7d64f0, v40
	v_fmac_f32_e32 v78, 0x3f7d64f0, v40
	;; [unrolled: 1-line block ×4, first 2 shown]
	v_add_f32_e32 v40, v36, v38
	v_sub_f32_e32 v36, v36, v38
	v_mul_f32_e32 v38, 0xbf7d64f0, v37
	v_mov_b32_e32 v39, v38
	v_fmac_f32_e32 v39, 0xbe11bafb, v40
	v_add_f32_e32 v39, v39, v43
	v_mul_f32_e32 v43, 0xbe11bafb, v41
	v_fmac_f32_e32 v80, 0x3f575c64, v44
	v_mov_b32_e32 v44, v43
	v_fma_f32 v38, v40, s3, -v38
	v_fmac_f32_e32 v43, 0xbf7d64f0, v36
	v_add_f32_e32 v38, v38, v42
	v_add_f32_e32 v42, v43, v46
	v_mul_f32_e32 v43, 0x3e903f40, v37
	v_add_f32_e32 v1, v45, v1
	v_mov_b32_e32 v45, v43
	v_fma_f32 v43, v40, s10, -v43
	v_fmac_f32_e32 v44, 0x3f7d64f0, v36
	v_fmac_f32_e32 v45, 0xbf75a155, v40
	v_mul_f32_e32 v46, 0xbf75a155, v41
	v_add_f32_e32 v43, v43, v47
	v_mul_f32_e32 v47, 0x3f68dda4, v37
	v_add_f32_e32 v44, v44, v68
	v_add_f32_e32 v45, v45, v69
	v_mov_b32_e32 v68, v46
	v_fmac_f32_e32 v46, 0x3e903f40, v36
	v_mov_b32_e32 v69, v47
	v_fma_f32 v47, v40, s2, -v47
	v_fmac_f32_e32 v68, 0xbe903f40, v36
	v_add_f32_e32 v46, v46, v70
	v_fmac_f32_e32 v69, 0x3ed4b147, v40
	v_mul_f32_e32 v70, 0x3ed4b147, v41
	v_add_f32_e32 v47, v47, v72
	v_mul_f32_e32 v72, 0xbf0a6770, v37
	v_add_f32_e32 v68, v68, v71
	v_add_f32_e32 v69, v69, v73
	v_mov_b32_e32 v71, v70
	v_fmac_f32_e32 v70, 0x3f68dda4, v36
	v_mov_b32_e32 v73, v72
	v_fma_f32 v72, v40, s4, -v72
	v_mul_f32_e32 v37, 0xbf4178ce, v37
	v_fmac_f32_e32 v71, 0xbf68dda4, v36
	v_add_f32_e32 v70, v70, v74
	v_fmac_f32_e32 v73, 0x3f575c64, v40
	v_mul_f32_e32 v74, 0x3f575c64, v41
	v_add_f32_e32 v72, v72, v76
	v_mov_b32_e32 v76, v37
	v_mul_f32_e32 v41, 0xbf27a4f4, v41
	v_fma_f32 v37, v40, s5, -v37
	v_add_f32_e32 v71, v71, v75
	v_add_f32_e32 v73, v73, v77
	v_mov_b32_e32 v75, v74
	v_mov_b32_e32 v77, v41
	v_add_f32_e32 v0, v37, v0
	v_add_f32_e32 v37, v33, v35
	v_sub_f32_e32 v33, v33, v35
	v_fmac_f32_e32 v75, 0x3f0a6770, v36
	v_fmac_f32_e32 v74, 0xbf0a6770, v36
	;; [unrolled: 1-line block ×4, first 2 shown]
	v_add_f32_e32 v36, v32, v34
	v_sub_f32_e32 v32, v32, v34
	v_mul_f32_e32 v34, 0xbf4178ce, v33
	v_mov_b32_e32 v35, v34
	v_fmac_f32_e32 v35, 0xbf27a4f4, v36
	v_add_f32_e32 v35, v35, v39
	v_mul_f32_e32 v39, 0xbf27a4f4, v37
	v_fmac_f32_e32 v76, 0xbf27a4f4, v40
	v_mov_b32_e32 v40, v39
	v_fma_f32 v34, v36, s5, -v34
	v_fmac_f32_e32 v39, 0xbf4178ce, v32
	v_add_f32_e32 v34, v34, v38
	v_add_f32_e32 v38, v39, v42
	v_mul_f32_e32 v39, 0x3f7d64f0, v33
	v_add_f32_e32 v1, v41, v1
	v_mov_b32_e32 v41, v39
	v_fma_f32 v39, v36, s3, -v39
	v_fmac_f32_e32 v40, 0x3f4178ce, v32
	v_fmac_f32_e32 v41, 0xbe11bafb, v36
	v_mul_f32_e32 v42, 0xbe11bafb, v37
	v_add_f32_e32 v39, v39, v43
	v_mul_f32_e32 v43, 0xbf0a6770, v33
	v_add_f32_e32 v40, v40, v44
	v_add_f32_e32 v41, v41, v45
	v_mov_b32_e32 v44, v42
	v_fmac_f32_e32 v42, 0x3f7d64f0, v32
	v_mov_b32_e32 v45, v43
	v_fma_f32 v43, v36, s4, -v43
	v_fmac_f32_e32 v44, 0xbf7d64f0, v32
	v_add_f32_e32 v42, v42, v46
	v_fmac_f32_e32 v45, 0x3f575c64, v36
	v_mul_f32_e32 v46, 0x3f575c64, v37
	v_add_f32_e32 v43, v43, v47
	v_mul_f32_e32 v47, 0xbe903f40, v33
	v_add_f32_e32 v44, v44, v68
	v_add_f32_e32 v45, v45, v69
	v_mov_b32_e32 v68, v46
	v_fmac_f32_e32 v46, 0xbf0a6770, v32
	v_mov_b32_e32 v69, v47
	v_add_f32_e32 v46, v46, v70
	v_fmac_f32_e32 v69, 0xbf75a155, v36
	v_mul_f32_e32 v70, 0xbf75a155, v37
	v_fma_f32 v47, v36, s10, -v47
	v_mul_f32_e32 v33, 0x3f68dda4, v33
	v_mul_f32_e32 v37, 0x3ed4b147, v37
	v_add_f32_e32 v79, v79, v83
	v_add_f32_e32 v80, v80, v138
	;; [unrolled: 1-line block ×5, first 2 shown]
	v_mov_b32_e32 v72, v33
	v_mov_b32_e32 v73, v37
	v_add_f32_e32 v78, v78, v82
	v_add_f32_e32 v75, v75, v79
	;; [unrolled: 1-line block ×4, first 2 shown]
	v_fmac_f32_e32 v68, 0x3f0a6770, v32
	v_fmac_f32_e32 v72, 0x3ed4b147, v36
	v_fmac_f32_e32 v73, 0xbf68dda4, v32
	v_sub_f32_e32 v79, v29, v31
	v_add_f32_e32 v74, v74, v78
	v_add_f32_e32 v68, v68, v71
	v_mov_b32_e32 v71, v70
	v_fmac_f32_e32 v70, 0xbe903f40, v32
	v_add_f32_e32 v72, v72, v76
	v_add_f32_e32 v73, v73, v77
	v_fma_f32 v33, v36, s2, -v33
	v_add_f32_e32 v76, v28, v30
	v_add_f32_e32 v77, v29, v31
	v_sub_f32_e32 v78, v28, v30
	v_mul_f32_e32 v28, 0xbe903f40, v79
	v_fmac_f32_e32 v71, 0x3e903f40, v32
	v_add_f32_e32 v70, v70, v74
	v_add_f32_e32 v74, v33, v0
	v_fmac_f32_e32 v37, 0x3f68dda4, v32
	v_mov_b32_e32 v0, v28
	v_mul_f32_e32 v29, 0xbf75a155, v77
	v_fma_f32 v28, v76, s10, -v28
	v_mul_f32_e32 v32, 0x3f0a6770, v79
	v_mul_f32_e32 v33, 0x3f575c64, v77
	;; [unrolled: 1-line block ×3, first 2 shown]
	v_add_f32_e32 v71, v71, v75
	v_add_f32_e32 v75, v37, v1
	v_mov_b32_e32 v1, v29
	v_add_f32_e32 v28, v28, v34
	v_mov_b32_e32 v30, v32
	v_mov_b32_e32 v31, v33
	;; [unrolled: 1-line block ×3, first 2 shown]
	v_fmac_f32_e32 v1, 0x3e903f40, v78
	v_fmac_f32_e32 v30, 0x3f575c64, v76
	;; [unrolled: 1-line block ×5, first 2 shown]
	v_add_f32_e32 v1, v1, v40
	v_fmac_f32_e32 v29, 0xbe903f40, v78
	v_add_f32_e32 v30, v30, v41
	v_add_f32_e32 v31, v31, v44
	v_fma_f32 v32, v76, s4, -v32
	v_fmac_f32_e32 v33, 0x3f0a6770, v78
	v_add_f32_e32 v34, v34, v45
	v_mul_f32_e32 v37, 0xbf27a4f4, v77
	v_fma_f32 v36, v76, s5, -v36
	v_mul_f32_e32 v40, 0x3f68dda4, v79
	v_mul_f32_e32 v41, 0x3ed4b147, v77
	;; [unrolled: 1-line block ×4, first 2 shown]
	v_add_f32_e32 v0, v0, v35
	v_add_f32_e32 v29, v29, v38
	;; [unrolled: 1-line block ×4, first 2 shown]
	v_mov_b32_e32 v35, v37
	v_add_f32_e32 v36, v36, v43
	v_mov_b32_e32 v38, v40
	v_mov_b32_e32 v39, v41
	;; [unrolled: 1-line block ×4, first 2 shown]
	v_fmac_f32_e32 v35, 0x3f4178ce, v78
	v_fmac_f32_e32 v38, 0x3ed4b147, v76
	;; [unrolled: 1-line block ×5, first 2 shown]
	s_waitcnt vmcnt(0)
	v_add_u32_e32 v2, 0x2000, v3
	v_add_f32_e32 v35, v35, v68
	v_fmac_f32_e32 v37, 0xbf4178ce, v78
	v_add_f32_e32 v38, v38, v69
	v_add_f32_e32 v39, v39, v71
	v_fma_f32 v40, v76, s2, -v40
	v_fmac_f32_e32 v41, 0x3f68dda4, v78
	v_add_f32_e32 v42, v42, v72
	v_add_f32_e32 v43, v43, v73
	v_fma_f32 v44, v76, s3, -v44
	v_fmac_f32_e32 v45, 0xbf7d64f0, v78
	ds_write2_b64 v2, v[66:67], v[0:1] offset0:98 offset1:149
	ds_write2_b64 v2, v[30:31], v[34:35] offset0:200 offset1:251
	v_add_u32_e32 v0, 0x2800, v3
	v_add_f32_e32 v37, v37, v46
	v_add_f32_e32 v40, v40, v47
	;; [unrolled: 1-line block ×5, first 2 shown]
	ds_write2_b64 v0, v[38:39], v[42:43] offset0:46 offset1:97
	ds_write2_b64 v0, v[44:45], v[40:41] offset0:148 offset1:199
	v_add_u32_e32 v0, 0x2c00, v3
	ds_write2_b64 v0, v[36:37], v[32:33] offset0:122 offset1:173
	ds_write_b64 v3, v[28:29] offset:13056
	s_waitcnt lgkmcnt(0)
	; wave barrier
	s_waitcnt lgkmcnt(0)
	ds_read2_b64 v[0:3], v237 offset1:51
	ds_read2_b64 v[4:7], v134 offset0:126 offset1:177
	ds_read2_b64 v[8:11], v131 offset0:98 offset1:149
	;; [unrolled: 1-line block ×15, first 2 shown]
	ds_read_b64 v[64:65], v237 offset:13056
	s_waitcnt lgkmcnt(14)
	v_mul_f32_e32 v66, v85, v7
	v_fmac_f32_e32 v66, v84, v6
	v_mul_f32_e32 v6, v85, v6
	v_fma_f32 v67, v84, v7, -v6
	v_mul_f32_e32 v6, v87, v8
	v_mul_f32_e32 v68, v87, v9
	v_fma_f32 v9, v86, v9, -v6
	s_waitcnt lgkmcnt(13)
	v_mul_f32_e32 v6, v89, v12
	v_mul_f32_e32 v69, v89, v13
	v_fma_f32 v13, v88, v13, -v6
	v_mul_f32_e32 v6, v91, v10
	v_fma_f32 v71, v90, v11, -v6
	v_mul_f32_e32 v6, v93, v14
	v_fma_f32 v73, v92, v15, -v6
	s_waitcnt lgkmcnt(11)
	v_mul_f32_e32 v6, v95, v20
	v_mul_f32_e32 v74, v95, v21
	v_fma_f32 v21, v94, v21, -v6
	s_waitcnt lgkmcnt(10)
	v_mul_f32_e32 v6, v97, v24
	v_mul_f32_e32 v75, v97, v25
	v_fma_f32 v25, v96, v25, -v6
	v_mul_f32_e32 v6, v99, v22
	v_fma_f32 v77, v98, v23, -v6
	v_mul_f32_e32 v6, v101, v26
	v_fma_f32 v79, v100, v27, -v6
	s_waitcnt lgkmcnt(8)
	;; [unrolled: 12-line block ×3, first 2 shown]
	v_mul_f32_e32 v6, v111, v44
	v_fmac_f32_e32 v68, v86, v8
	v_mul_f32_e32 v86, v111, v45
	v_fma_f32 v45, v110, v45, -v6
	s_waitcnt lgkmcnt(4)
	v_mul_f32_e32 v6, v113, v48
	v_mul_f32_e32 v87, v113, v49
	v_fma_f32 v49, v112, v49, -v6
	v_mul_f32_e32 v6, v115, v46
	v_fma_f32 v89, v114, v47, -v6
	v_mul_f32_e32 v6, v117, v50
	v_mul_f32_e32 v70, v91, v11
	;; [unrolled: 1-line block ×3, first 2 shown]
	v_fma_f32 v91, v116, v51, -v6
	s_waitcnt lgkmcnt(2)
	v_mul_f32_e32 v6, v119, v56
	v_fmac_f32_e32 v72, v92, v14
	v_mul_f32_e32 v92, v119, v57
	v_fma_f32 v57, v118, v57, -v6
	s_waitcnt lgkmcnt(1)
	v_mul_f32_e32 v6, v121, v60
	v_mul_f32_e32 v93, v121, v61
	v_fma_f32 v61, v120, v61, -v6
	v_mul_f32_e32 v6, v123, v58
	v_fma_f32 v95, v122, v59, -v6
	v_mul_f32_e32 v6, v125, v62
	v_mul_f32_e32 v76, v99, v23
	v_fma_f32 v97, v124, v63, -v6
	s_waitcnt lgkmcnt(0)
	v_mul_f32_e32 v6, v127, v64
	v_add_f32_e32 v7, v66, v68
	v_fmac_f32_e32 v76, v98, v22
	v_mul_f32_e32 v98, v127, v65
	v_fma_f32 v65, v126, v65, -v6
	v_add_f32_e32 v6, v0, v66
	v_fma_f32 v0, -0.5, v7, v0
	v_sub_f32_e32 v7, v67, v9
	v_mov_b32_e32 v8, v0
	v_fmac_f32_e32 v8, 0xbf5db3d7, v7
	v_fmac_f32_e32 v0, 0x3f5db3d7, v7
	v_add_f32_e32 v7, v1, v67
	v_add_f32_e32 v7, v7, v9
	;; [unrolled: 1-line block ×3, first 2 shown]
	v_fmac_f32_e32 v69, v88, v12
	v_fmac_f32_e32 v70, v90, v10
	v_fma_f32 v1, -0.5, v9, v1
	v_sub_f32_e32 v10, v66, v68
	v_mov_b32_e32 v9, v1
	v_add_f32_e32 v11, v69, v70
	v_fmac_f32_e32 v9, 0x3f5db3d7, v10
	v_fmac_f32_e32 v1, 0xbf5db3d7, v10
	v_add_f32_e32 v10, v2, v69
	v_fma_f32 v2, -0.5, v11, v2
	v_sub_f32_e32 v11, v13, v71
	v_mov_b32_e32 v12, v2
	v_fmac_f32_e32 v12, 0xbf5db3d7, v11
	v_fmac_f32_e32 v2, 0x3f5db3d7, v11
	v_add_f32_e32 v11, v3, v13
	v_add_f32_e32 v13, v13, v71
	v_fmac_f32_e32 v74, v94, v20
	v_fmac_f32_e32 v3, -0.5, v13
	v_sub_f32_e32 v14, v69, v70
	v_mov_b32_e32 v13, v3
	v_add_f32_e32 v15, v72, v74
	v_fmac_f32_e32 v13, 0x3f5db3d7, v14
	v_fmac_f32_e32 v3, 0xbf5db3d7, v14
	v_add_f32_e32 v14, v16, v72
	v_fma_f32 v16, -0.5, v15, v16
	v_sub_f32_e32 v15, v73, v21
	v_mov_b32_e32 v20, v16
	v_fmac_f32_e32 v20, 0xbf5db3d7, v15
	v_fmac_f32_e32 v16, 0x3f5db3d7, v15
	v_add_f32_e32 v15, v17, v73
	v_add_f32_e32 v15, v15, v21
	;; [unrolled: 1-line block ×3, first 2 shown]
	v_fmac_f32_e32 v75, v96, v24
	v_fma_f32 v17, -0.5, v21, v17
	v_sub_f32_e32 v22, v72, v74
	v_mov_b32_e32 v21, v17
	v_add_f32_e32 v23, v75, v76
	v_fmac_f32_e32 v21, 0x3f5db3d7, v22
	v_fmac_f32_e32 v17, 0xbf5db3d7, v22
	v_add_f32_e32 v22, v18, v75
	v_fma_f32 v18, -0.5, v23, v18
	v_sub_f32_e32 v23, v25, v77
	v_mov_b32_e32 v24, v18
	v_mul_f32_e32 v78, v101, v27
	v_fmac_f32_e32 v24, 0xbf5db3d7, v23
	v_fmac_f32_e32 v18, 0x3f5db3d7, v23
	v_add_f32_e32 v23, v19, v25
	v_add_f32_e32 v25, v25, v77
	v_fmac_f32_e32 v78, v100, v26
	v_fmac_f32_e32 v80, v102, v32
	v_fmac_f32_e32 v19, -0.5, v25
	v_sub_f32_e32 v26, v75, v76
	v_mov_b32_e32 v25, v19
	v_add_f32_e32 v27, v78, v80
	v_fmac_f32_e32 v25, 0x3f5db3d7, v26
	v_fmac_f32_e32 v19, 0xbf5db3d7, v26
	v_add_f32_e32 v26, v28, v78
	v_fma_f32 v28, -0.5, v27, v28
	v_sub_f32_e32 v27, v79, v33
	v_mov_b32_e32 v32, v28
	v_fmac_f32_e32 v32, 0xbf5db3d7, v27
	v_fmac_f32_e32 v28, 0x3f5db3d7, v27
	v_add_f32_e32 v27, v29, v79
	v_mul_f32_e32 v82, v107, v35
	v_add_f32_e32 v27, v27, v33
	v_add_f32_e32 v33, v79, v33
	v_fmac_f32_e32 v81, v104, v36
	v_fmac_f32_e32 v82, v106, v34
	v_fma_f32 v29, -0.5, v33, v29
	v_sub_f32_e32 v34, v78, v80
	v_mov_b32_e32 v33, v29
	v_add_f32_e32 v35, v81, v82
	v_fmac_f32_e32 v33, 0x3f5db3d7, v34
	v_fmac_f32_e32 v29, 0xbf5db3d7, v34
	v_add_f32_e32 v34, v30, v81
	v_fma_f32 v30, -0.5, v35, v30
	v_sub_f32_e32 v35, v37, v83
	v_mov_b32_e32 v36, v30
	v_mul_f32_e32 v84, v109, v39
	v_fmac_f32_e32 v36, 0xbf5db3d7, v35
	v_fmac_f32_e32 v30, 0x3f5db3d7, v35
	v_add_f32_e32 v35, v31, v37
	v_add_f32_e32 v37, v37, v83
	v_fmac_f32_e32 v84, v108, v38
	v_fmac_f32_e32 v86, v110, v44
	v_fmac_f32_e32 v31, -0.5, v37
	v_sub_f32_e32 v38, v81, v82
	v_mov_b32_e32 v37, v31
	v_add_f32_e32 v39, v84, v86
	v_fmac_f32_e32 v37, 0x3f5db3d7, v38
	v_fmac_f32_e32 v31, 0xbf5db3d7, v38
	v_add_f32_e32 v38, v40, v84
	v_fma_f32 v40, -0.5, v39, v40
	v_sub_f32_e32 v39, v85, v45
	v_mov_b32_e32 v44, v40
	v_fmac_f32_e32 v44, 0xbf5db3d7, v39
	v_fmac_f32_e32 v40, 0x3f5db3d7, v39
	v_add_f32_e32 v39, v41, v85
	v_mul_f32_e32 v88, v115, v47
	v_add_f32_e32 v39, v39, v45
	v_add_f32_e32 v45, v85, v45
	v_fmac_f32_e32 v87, v112, v48
	;; [unrolled: 35-line block ×3, first 2 shown]
	v_fmac_f32_e32 v94, v122, v58
	v_fma_f32 v53, -0.5, v57, v53
	v_sub_f32_e32 v58, v90, v92
	v_mov_b32_e32 v57, v53
	v_add_f32_e32 v59, v93, v94
	v_fmac_f32_e32 v57, 0x3f5db3d7, v58
	v_fmac_f32_e32 v53, 0xbf5db3d7, v58
	v_add_f32_e32 v58, v54, v93
	v_fma_f32 v54, -0.5, v59, v54
	v_sub_f32_e32 v59, v61, v95
	v_mov_b32_e32 v60, v54
	v_mul_f32_e32 v96, v125, v63
	v_fmac_f32_e32 v60, 0xbf5db3d7, v59
	v_fmac_f32_e32 v54, 0x3f5db3d7, v59
	v_add_f32_e32 v59, v55, v61
	v_add_f32_e32 v61, v61, v95
	v_fmac_f32_e32 v96, v124, v62
	v_fmac_f32_e32 v98, v126, v64
	v_fmac_f32_e32 v55, -0.5, v61
	v_sub_f32_e32 v62, v93, v94
	v_mov_b32_e32 v61, v55
	v_add_f32_e32 v63, v96, v98
	v_fmac_f32_e32 v61, 0x3f5db3d7, v62
	v_fmac_f32_e32 v55, 0xbf5db3d7, v62
	v_add_f32_e32 v62, v4, v96
	v_fma_f32 v4, -0.5, v63, v4
	v_sub_f32_e32 v63, v97, v65
	v_mov_b32_e32 v64, v4
	v_fmac_f32_e32 v64, 0xbf5db3d7, v63
	v_fmac_f32_e32 v4, 0x3f5db3d7, v63
	v_add_f32_e32 v63, v5, v97
	v_add_f32_e32 v63, v63, v65
	;; [unrolled: 1-line block ×3, first 2 shown]
	v_fmac_f32_e32 v5, -0.5, v65
	v_add_f32_e32 v6, v6, v68
	v_add_f32_e32 v10, v10, v70
	;; [unrolled: 1-line block ×3, first 2 shown]
	v_sub_f32_e32 v66, v96, v98
	v_mov_b32_e32 v65, v5
	v_add_f32_e32 v14, v14, v74
	v_add_f32_e32 v22, v22, v76
	;; [unrolled: 1-line block ×13, first 2 shown]
	v_fmac_f32_e32 v65, 0x3f5db3d7, v66
	v_fmac_f32_e32 v5, 0xbf5db3d7, v66
	ds_write2_b64 v237, v[6:7], v[10:11] offset1:51
	ds_write2_b64 v131, v[0:1], v[2:3] offset0:98 offset1:149
	ds_write2_b64 v133, v[12:13], v[20:21] offset0:100 offset1:151
	;; [unrolled: 1-line block ×15, first 2 shown]
	ds_write_b64 v237, v[4:5] offset:13056
	s_waitcnt lgkmcnt(0)
	; wave barrier
	s_waitcnt lgkmcnt(0)
	ds_read2_b64 v[0:3], v237 offset1:99
	buffer_load_dword v7, off, s[24:27], 0 offset:64 ; 4-byte Folded Reload
	buffer_load_dword v8, off, s[24:27], 0 offset:68 ; 4-byte Folded Reload
	;; [unrolled: 1-line block ×4, first 2 shown]
	v_mov_b32_e32 v4, v129
	v_mad_u64_u32 v[4:5], s[2:3], s11, v195, v[4:5]
	s_mov_b32 s2, 0x87d568ce
	s_mov_b32 s3, 0x3f437851
	v_mov_b32_e32 v129, v4
	s_movk_i32 s10, 0x2000
	s_movk_i32 s11, 0x1000
	s_waitcnt vmcnt(2) lgkmcnt(0)
	v_mul_f32_e32 v5, v8, v1
	v_fmac_f32_e32 v5, v7, v0
	v_cvt_f64_f32_e32 v[5:6], v5
	v_mul_f32_e32 v0, v8, v0
	v_fma_f32 v0, v7, v1, -v0
	v_cvt_f64_f32_e32 v[0:1], v0
	v_mul_f64 v[5:6], v[5:6], s[2:3]
	v_mad_u64_u32 v[7:8], s[4:5], s8, v215, 0
	v_mul_f64 v[0:1], v[0:1], s[2:3]
	v_mov_b32_e32 v4, v8
	v_mad_u64_u32 v[8:9], s[4:5], s9, v215, v[4:5]
	s_waitcnt vmcnt(0)
	v_mul_f32_e32 v9, v12, v3
	v_fmac_f32_e32 v9, v11, v2
	v_mul_f32_e32 v2, v12, v2
	v_cvt_f32_f64_e32 v4, v[5:6]
	v_cvt_f32_f64_e32 v5, v[0:1]
	v_lshlrev_b64 v[0:1], 3, v[128:129]
	v_fma_f32 v2, v11, v3, -v2
	v_cvt_f64_f32_e32 v[9:10], v9
	v_cvt_f64_f32_e32 v[11:12], v2
	v_mov_b32_e32 v6, s15
	v_add_co_u32_e32 v2, vcc, s14, v0
	v_addc_co_u32_e32 v3, vcc, v6, v1, vcc
	v_lshlrev_b64 v[6:7], 3, v[7:8]
	v_mul_f64 v[0:1], v[9:10], s[2:3]
	v_mul_f64 v[10:11], v[11:12], s[2:3]
	v_add_co_u32_e32 v12, vcc, v2, v6
	v_addc_co_u32_e32 v13, vcc, v3, v7, vcc
	global_store_dwordx2 v[12:13], v[4:5], off
	v_add_u32_e32 v5, 0x400, v237
	ds_read2_b64 v[6:9], v5 offset0:70 offset1:169
	buffer_load_dword v14, off, s[24:27], 0 offset:48 ; 4-byte Folded Reload
	buffer_load_dword v15, off, s[24:27], 0 offset:52 ; 4-byte Folded Reload
	v_cvt_f32_f64_e32 v0, v[0:1]
	v_cvt_f32_f64_e32 v1, v[10:11]
	s_mul_i32 s4, s9, 0x63
	s_mul_hi_u32 s5, s8, 0x63
	s_add_i32 s5, s5, s4
	s_mul_i32 s4, s8, 0x63
	s_lshl_b64 s[4:5], s[4:5], 3
	v_mov_b32_e32 v18, s5
	v_add_co_u32_e32 v12, vcc, s4, v12
	v_addc_co_u32_e32 v13, vcc, v13, v18, vcc
	global_store_dwordx2 v[12:13], v[0:1], off
	v_add_co_u32_e32 v12, vcc, s4, v12
	v_addc_co_u32_e32 v13, vcc, v13, v18, vcc
	s_waitcnt vmcnt(1) lgkmcnt(0)
	v_mul_f32_e32 v4, v15, v7
	v_fmac_f32_e32 v4, v14, v6
	v_cvt_f64_f32_e32 v[10:11], v4
	v_mul_f32_e32 v4, v15, v6
	v_fma_f32 v4, v14, v7, -v4
	v_cvt_f64_f32_e32 v[6:7], v4
	v_mul_f64 v[10:11], v[10:11], s[2:3]
	v_mul_f64 v[6:7], v[6:7], s[2:3]
	v_cvt_f32_f64_e32 v0, v[10:11]
	v_cvt_f32_f64_e32 v1, v[6:7]
	buffer_load_dword v6, off, s[24:27], 0 offset:16 ; 4-byte Folded Reload
	buffer_load_dword v7, off, s[24:27], 0 offset:20 ; 4-byte Folded Reload
	s_waitcnt vmcnt(0)
	v_mul_f32_e32 v4, v7, v9
	v_fmac_f32_e32 v4, v6, v8
	v_cvt_f64_f32_e32 v[10:11], v4
	v_mul_f32_e32 v4, v7, v8
	v_fma_f32 v4, v6, v9, -v4
	ds_read2_b64 v[6:9], v137 offset0:140 offset1:239
	buffer_load_dword v19, off, s[24:27], 0 offset:32 ; 4-byte Folded Reload
	buffer_load_dword v20, off, s[24:27], 0 offset:36 ; 4-byte Folded Reload
	v_cvt_f64_f32_e32 v[14:15], v4
	v_mul_f64 v[10:11], v[10:11], s[2:3]
	global_store_dwordx2 v[12:13], v[0:1], off
	v_add_co_u32_e32 v12, vcc, s4, v12
	v_mul_f64 v[14:15], v[14:15], s[2:3]
	v_addc_co_u32_e32 v13, vcc, v13, v18, vcc
	v_cvt_f32_f64_e32 v0, v[10:11]
	v_cvt_f32_f64_e32 v1, v[14:15]
	global_store_dwordx2 v[12:13], v[0:1], off
	v_add_co_u32_e32 v12, vcc, s4, v12
	v_addc_co_u32_e32 v13, vcc, v13, v18, vcc
	s_waitcnt vmcnt(2) lgkmcnt(0)
	v_mul_f32_e32 v4, v20, v7
	v_fmac_f32_e32 v4, v19, v6
	v_cvt_f64_f32_e32 v[16:17], v4
	v_mul_f32_e32 v4, v20, v6
	v_fma_f32 v4, v19, v7, -v4
	v_cvt_f64_f32_e32 v[6:7], v4
	v_mul_f64 v[10:11], v[16:17], s[2:3]
	v_mul_f64 v[6:7], v[6:7], s[2:3]
	v_cvt_f32_f64_e32 v0, v[10:11]
	v_cvt_f32_f64_e32 v1, v[6:7]
	buffer_load_dword v6, off, s[24:27], 0  ; 4-byte Folded Reload
	buffer_load_dword v7, off, s[24:27], 0 offset:4 ; 4-byte Folded Reload
	s_waitcnt vmcnt(0)
	v_mul_f32_e32 v4, v7, v9
	v_fmac_f32_e32 v4, v6, v8
	v_cvt_f64_f32_e32 v[10:11], v4
	v_mul_f32_e32 v4, v7, v8
	v_fma_f32 v4, v6, v9, -v4
	ds_read2_b64 v[6:9], v133 offset0:82 offset1:181
	buffer_load_dword v19, off, s[24:27], 0 offset:40 ; 4-byte Folded Reload
	buffer_load_dword v20, off, s[24:27], 0 offset:44 ; 4-byte Folded Reload
	v_cvt_f64_f32_e32 v[14:15], v4
	v_mul_f64 v[10:11], v[10:11], s[2:3]
	global_store_dwordx2 v[12:13], v[0:1], off
	v_add_co_u32_e32 v12, vcc, s4, v12
	v_mul_f64 v[14:15], v[14:15], s[2:3]
	v_addc_co_u32_e32 v13, vcc, v13, v18, vcc
	v_cvt_f32_f64_e32 v0, v[10:11]
	v_cvt_f32_f64_e32 v1, v[14:15]
	global_store_dwordx2 v[12:13], v[0:1], off
	v_add_co_u32_e32 v12, vcc, s4, v12
	v_addc_co_u32_e32 v13, vcc, v13, v18, vcc
	s_waitcnt vmcnt(2) lgkmcnt(0)
	v_mul_f32_e32 v4, v20, v7
	v_fmac_f32_e32 v4, v19, v6
	v_cvt_f64_f32_e32 v[16:17], v4
	v_mul_f32_e32 v4, v20, v6
	v_fma_f32 v4, v19, v7, -v4
	v_cvt_f64_f32_e32 v[6:7], v4
	v_mul_f64 v[10:11], v[16:17], s[2:3]
	v_mul_f64 v[6:7], v[6:7], s[2:3]
	v_cvt_f32_f64_e32 v0, v[10:11]
	v_cvt_f32_f64_e32 v1, v[6:7]
	buffer_load_dword v6, off, s[24:27], 0 offset:8 ; 4-byte Folded Reload
	buffer_load_dword v7, off, s[24:27], 0 offset:12 ; 4-byte Folded Reload
	s_waitcnt vmcnt(0)
	v_mul_f32_e32 v4, v7, v9
	v_fmac_f32_e32 v4, v6, v8
	v_cvt_f64_f32_e32 v[10:11], v4
	v_mul_f32_e32 v4, v7, v8
	v_fma_f32 v4, v6, v9, -v4
	ds_read2_b64 v[6:9], v132 offset0:24 offset1:123
	v_cvt_f64_f32_e32 v[14:15], v4
	v_mul_f64 v[10:11], v[10:11], s[2:3]
	global_store_dwordx2 v[12:13], v[0:1], off
	v_add_co_u32_e32 v12, vcc, s4, v12
	s_waitcnt lgkmcnt(0)
	v_mul_f32_e32 v4, v231, v7
	v_fmac_f32_e32 v4, v230, v6
	v_cvt_f64_f32_e32 v[16:17], v4
	v_mul_f32_e32 v4, v231, v6
	v_mul_f64 v[14:15], v[14:15], s[2:3]
	v_fma_f32 v4, v230, v7, -v4
	v_cvt_f64_f32_e32 v[6:7], v4
	v_cvt_f32_f64_e32 v0, v[10:11]
	v_mul_f64 v[10:11], v[16:17], s[2:3]
	v_mul_f32_e32 v4, v229, v9
	v_mul_f64 v[6:7], v[6:7], s[2:3]
	v_addc_co_u32_e32 v13, vcc, v13, v18, vcc
	v_cvt_f32_f64_e32 v1, v[14:15]
	v_fmac_f32_e32 v4, v228, v8
	global_store_dwordx2 v[12:13], v[0:1], off
	v_cvt_f32_f64_e32 v0, v[10:11]
	v_cvt_f64_f32_e32 v[10:11], v4
	v_mul_f32_e32 v4, v229, v8
	v_cvt_f32_f64_e32 v1, v[6:7]
	v_fma_f32 v4, v228, v9, -v4
	ds_read2_b64 v[6:9], v136 offset0:94 offset1:193
	v_cvt_f64_f32_e32 v[14:15], v4
	v_mul_f64 v[10:11], v[10:11], s[2:3]
	v_add_co_u32_e32 v12, vcc, s4, v12
	s_waitcnt lgkmcnt(0)
	v_mul_f32_e32 v4, v224, v7
	v_fmac_f32_e32 v4, v223, v6
	v_mul_f64 v[14:15], v[14:15], s[2:3]
	v_cvt_f64_f32_e32 v[16:17], v4
	v_addc_co_u32_e32 v13, vcc, v13, v18, vcc
	global_store_dwordx2 v[12:13], v[0:1], off
	v_cvt_f32_f64_e32 v0, v[10:11]
	v_mul_f64 v[10:11], v[16:17], s[2:3]
	v_mul_f32_e32 v4, v224, v6
	v_cvt_f32_f64_e32 v1, v[14:15]
	v_fma_f32 v4, v223, v7, -v4
	v_cvt_f64_f32_e32 v[6:7], v4
	v_add_co_u32_e32 v12, vcc, s4, v12
	v_mul_f32_e32 v4, v221, v9
	v_addc_co_u32_e32 v13, vcc, v13, v18, vcc
	v_fmac_f32_e32 v4, v220, v8
	global_store_dwordx2 v[12:13], v[0:1], off
	v_cvt_f32_f64_e32 v0, v[10:11]
	v_cvt_f64_f32_e32 v[10:11], v4
	v_mul_f32_e32 v4, v221, v8
	v_fma_f32 v4, v220, v9, -v4
	v_mul_f64 v[6:7], v[6:7], s[2:3]
	v_cvt_f64_f32_e32 v[14:15], v4
	v_mul_f64 v[10:11], v[10:11], s[2:3]
	v_add_co_u32_e32 v12, vcc, s4, v12
	v_mul_f64 v[14:15], v[14:15], s[2:3]
	v_addc_co_u32_e32 v13, vcc, v13, v18, vcc
	v_cvt_f32_f64_e32 v1, v[6:7]
	v_add_u32_e32 v4, 0x2400, v237
	ds_read2_b64 v[6:9], v4 offset0:36 offset1:135
	global_store_dwordx2 v[12:13], v[0:1], off
	v_cvt_f32_f64_e32 v0, v[10:11]
	v_cvt_f32_f64_e32 v1, v[14:15]
	v_add_co_u32_e32 v12, vcc, s4, v12
	v_addc_co_u32_e32 v13, vcc, v13, v18, vcc
	global_store_dwordx2 v[12:13], v[0:1], off
	buffer_load_dword v14, off, s[24:27], 0 offset:152 ; 4-byte Folded Reload
	buffer_load_dword v15, off, s[24:27], 0 offset:156 ; 4-byte Folded Reload
	s_waitcnt lgkmcnt(0)
	v_mul_f32_e32 v16, v227, v7
	v_fmac_f32_e32 v16, v226, v6
	v_mul_f32_e32 v6, v227, v6
	v_fma_f32 v6, v226, v7, -v6
	v_cvt_f64_f32_e32 v[6:7], v6
	v_cvt_f64_f32_e32 v[16:17], v16
	v_add_co_u32_e32 v12, vcc, s4, v12
	v_mul_f64 v[6:7], v[6:7], s[2:3]
	v_mul_f64 v[10:11], v[16:17], s[2:3]
	v_addc_co_u32_e32 v13, vcc, v13, v18, vcc
	v_cvt_f32_f64_e32 v1, v[6:7]
	v_cvt_f32_f64_e32 v0, v[10:11]
	global_store_dwordx2 v[12:13], v[0:1], off
	v_add_co_u32_e32 v12, vcc, s4, v12
	v_addc_co_u32_e32 v13, vcc, v13, v18, vcc
	s_waitcnt vmcnt(1)
	v_mul_f32_e32 v6, v15, v9
	v_fmac_f32_e32 v6, v14, v8
	v_cvt_f64_f32_e32 v[10:11], v6
	v_mul_f32_e32 v6, v15, v8
	v_fma_f32 v6, v14, v9, -v6
	v_cvt_f64_f32_e32 v[14:15], v6
	ds_read2_b64 v[6:9], v135 offset0:106 offset1:205
	v_mul_f64 v[10:11], v[10:11], s[2:3]
	v_mul_f64 v[14:15], v[14:15], s[2:3]
	s_waitcnt lgkmcnt(0)
	v_mul_f32_e32 v16, v217, v7
	v_fmac_f32_e32 v16, v216, v6
	v_mul_f32_e32 v6, v217, v6
	v_fma_f32 v6, v216, v7, -v6
	v_cvt_f64_f32_e32 v[6:7], v6
	v_cvt_f64_f32_e32 v[16:17], v16
	v_cvt_f32_f64_e32 v0, v[10:11]
	v_cvt_f32_f64_e32 v1, v[14:15]
	v_mul_f64 v[6:7], v[6:7], s[2:3]
	v_mul_f64 v[10:11], v[16:17], s[2:3]
	global_store_dwordx2 v[12:13], v[0:1], off
	v_add_co_u32_e32 v12, vcc, s4, v12
	v_addc_co_u32_e32 v13, vcc, v13, v18, vcc
	v_cvt_f32_f64_e32 v1, v[6:7]
	v_mul_f32_e32 v6, v214, v9
	v_fmac_f32_e32 v6, v213, v8
	v_cvt_f32_f64_e32 v0, v[10:11]
	v_cvt_f64_f32_e32 v[6:7], v6
	ds_read_b64 v[10:11], v237 offset:12672
	v_mul_f32_e32 v8, v214, v8
	v_fma_f32 v8, v213, v9, -v8
	v_mul_f64 v[6:7], v[6:7], s[2:3]
	v_cvt_f64_f32_e32 v[8:9], v8
	s_waitcnt lgkmcnt(0)
	v_mul_f32_e32 v14, v212, v11
	v_fmac_f32_e32 v14, v211, v10
	v_mul_f32_e32 v10, v212, v10
	v_fma_f32 v10, v211, v11, -v10
	v_cvt_f64_f32_e32 v[14:15], v14
	v_cvt_f64_f32_e32 v[10:11], v10
	v_mul_f64 v[8:9], v[8:9], s[2:3]
	global_store_dwordx2 v[12:13], v[0:1], off
	v_cvt_f32_f64_e32 v0, v[6:7]
	v_mul_f64 v[6:7], v[14:15], s[2:3]
	v_mul_f64 v[10:11], v[10:11], s[2:3]
	v_cvt_f32_f64_e32 v1, v[8:9]
	v_add_co_u32_e32 v8, vcc, s4, v12
	v_cvt_f32_f64_e32 v6, v[6:7]
	v_cvt_f32_f64_e32 v7, v[10:11]
	v_addc_co_u32_e32 v9, vcc, v13, v18, vcc
	global_store_dwordx2 v[8:9], v[0:1], off
	v_add_co_u32_e32 v0, vcc, s4, v8
	v_addc_co_u32_e32 v1, vcc, v9, v18, vcc
	global_store_dwordx2 v[0:1], v[6:7], off
	s_and_b64 exec, exec, s[0:1]
	s_cbranch_execz .LBB0_15
; %bb.14:
	global_load_dwordx2 v[10:11], v[196:197], off offset:408
	ds_read2_b64 v[6:9], v237 offset0:51 offset1:150
	v_mov_b32_e32 v13, s5
	s_waitcnt vmcnt(0) lgkmcnt(0)
	v_mul_f32_e32 v12, v7, v11
	v_mul_f32_e32 v11, v6, v11
	v_fmac_f32_e32 v12, v6, v10
	v_fma_f32 v10, v10, v7, -v11
	v_cvt_f64_f32_e32 v[6:7], v12
	v_cvt_f64_f32_e32 v[10:11], v10
	v_mov_b32_e32 v12, 0xffffd018
	v_mad_u64_u32 v[0:1], s[0:1], s8, v12, v[0:1]
	v_mul_f64 v[6:7], v[6:7], s[2:3]
	v_mul_f64 v[10:11], v[10:11], s[2:3]
	s_mul_i32 s0, s9, 0xffffd018
	s_sub_i32 s0, s0, s8
	v_add_u32_e32 v1, s0, v1
	v_cvt_f32_f64_e32 v6, v[6:7]
	v_cvt_f32_f64_e32 v7, v[10:11]
	global_store_dwordx2 v[0:1], v[6:7], off
	global_load_dwordx2 v[6:7], v[196:197], off offset:1200
	v_add_co_u32_e32 v0, vcc, s4, v0
	v_addc_co_u32_e32 v1, vcc, v1, v13, vcc
	s_waitcnt vmcnt(0)
	v_mul_f32_e32 v10, v9, v7
	v_mul_f32_e32 v7, v8, v7
	v_fmac_f32_e32 v10, v8, v6
	v_fma_f32 v8, v6, v9, -v7
	v_cvt_f64_f32_e32 v[6:7], v10
	v_cvt_f64_f32_e32 v[8:9], v8
	v_mul_f64 v[6:7], v[6:7], s[2:3]
	v_mul_f64 v[8:9], v[8:9], s[2:3]
	v_cvt_f32_f64_e32 v6, v[6:7]
	v_cvt_f32_f64_e32 v7, v[8:9]
	global_store_dwordx2 v[0:1], v[6:7], off
	global_load_dwordx2 v[9:10], v[196:197], off offset:1992
	ds_read2_b64 v[5:8], v5 offset0:121 offset1:220
	v_add_co_u32_e32 v0, vcc, s4, v0
	v_addc_co_u32_e32 v1, vcc, v1, v13, vcc
	s_waitcnt vmcnt(0) lgkmcnt(0)
	v_mul_f32_e32 v11, v6, v10
	v_mul_f32_e32 v10, v5, v10
	v_fmac_f32_e32 v11, v5, v9
	v_fma_f32 v9, v9, v6, -v10
	v_cvt_f64_f32_e32 v[5:6], v11
	v_cvt_f64_f32_e32 v[9:10], v9
	v_mul_f64 v[5:6], v[5:6], s[2:3]
	v_mul_f64 v[9:10], v[9:10], s[2:3]
	v_cvt_f32_f64_e32 v5, v[5:6]
	v_cvt_f32_f64_e32 v6, v[9:10]
	global_store_dwordx2 v[0:1], v[5:6], off
	global_load_dwordx2 v[5:6], v[196:197], off offset:2784
	v_add_co_u32_e32 v0, vcc, s4, v0
	v_addc_co_u32_e32 v1, vcc, v1, v13, vcc
	s_waitcnt vmcnt(0)
	v_mul_f32_e32 v9, v8, v6
	v_mul_f32_e32 v6, v7, v6
	v_fmac_f32_e32 v9, v7, v5
	v_fma_f32 v7, v5, v8, -v6
	v_cvt_f64_f32_e32 v[5:6], v9
	v_cvt_f64_f32_e32 v[7:8], v7
	v_mul_f64 v[5:6], v[5:6], s[2:3]
	v_mul_f64 v[7:8], v[7:8], s[2:3]
	v_cvt_f32_f64_e32 v5, v[5:6]
	v_cvt_f32_f64_e32 v6, v[7:8]
	global_store_dwordx2 v[0:1], v[5:6], off
	global_load_dwordx2 v[9:10], v[196:197], off offset:3576
	ds_read2_b64 v[5:8], v134 offset0:63 offset1:162
	s_waitcnt vmcnt(0) lgkmcnt(0)
	v_mul_f32_e32 v11, v6, v10
	v_mul_f32_e32 v10, v5, v10
	v_fmac_f32_e32 v11, v5, v9
	v_fma_f32 v9, v9, v6, -v10
	v_cvt_f64_f32_e32 v[5:6], v11
	v_cvt_f64_f32_e32 v[9:10], v9
	v_add_co_u32_e32 v11, vcc, s11, v196
	v_mul_f64 v[5:6], v[5:6], s[2:3]
	v_mul_f64 v[9:10], v[9:10], s[2:3]
	v_addc_co_u32_e32 v12, vcc, 0, v197, vcc
	v_add_co_u32_e32 v0, vcc, s4, v0
	v_addc_co_u32_e32 v1, vcc, v1, v13, vcc
	v_cvt_f32_f64_e32 v5, v[5:6]
	v_cvt_f32_f64_e32 v6, v[9:10]
	global_store_dwordx2 v[0:1], v[5:6], off
	global_load_dwordx2 v[5:6], v[11:12], off offset:272
	v_add_co_u32_e32 v0, vcc, s4, v0
	v_addc_co_u32_e32 v1, vcc, v1, v13, vcc
	s_waitcnt vmcnt(0)
	v_mul_f32_e32 v9, v8, v6
	v_mul_f32_e32 v6, v7, v6
	v_fmac_f32_e32 v9, v7, v5
	v_fma_f32 v7, v5, v8, -v6
	v_cvt_f64_f32_e32 v[5:6], v9
	v_cvt_f64_f32_e32 v[7:8], v7
	v_mul_f64 v[5:6], v[5:6], s[2:3]
	v_mul_f64 v[7:8], v[7:8], s[2:3]
	v_cvt_f32_f64_e32 v5, v[5:6]
	v_cvt_f32_f64_e32 v6, v[7:8]
	global_store_dwordx2 v[0:1], v[5:6], off
	global_load_dwordx2 v[9:10], v[11:12], off offset:1064
	ds_read2_b64 v[5:8], v133 offset0:133 offset1:232
	v_add_co_u32_e32 v0, vcc, s4, v0
	v_addc_co_u32_e32 v1, vcc, v1, v13, vcc
	s_waitcnt vmcnt(0) lgkmcnt(0)
	v_mul_f32_e32 v14, v6, v10
	v_mul_f32_e32 v10, v5, v10
	v_fmac_f32_e32 v14, v5, v9
	v_fma_f32 v9, v9, v6, -v10
	v_cvt_f64_f32_e32 v[5:6], v14
	v_cvt_f64_f32_e32 v[9:10], v9
	v_mul_f64 v[5:6], v[5:6], s[2:3]
	v_mul_f64 v[9:10], v[9:10], s[2:3]
	v_cvt_f32_f64_e32 v5, v[5:6]
	v_cvt_f32_f64_e32 v6, v[9:10]
	global_store_dwordx2 v[0:1], v[5:6], off
	global_load_dwordx2 v[5:6], v[11:12], off offset:1856
	v_add_co_u32_e32 v0, vcc, s4, v0
	v_addc_co_u32_e32 v1, vcc, v1, v13, vcc
	s_waitcnt vmcnt(0)
	v_mul_f32_e32 v9, v8, v6
	v_mul_f32_e32 v6, v7, v6
	v_fmac_f32_e32 v9, v7, v5
	v_fma_f32 v7, v5, v8, -v6
	v_cvt_f64_f32_e32 v[5:6], v9
	v_cvt_f64_f32_e32 v[7:8], v7
	v_mul_f64 v[5:6], v[5:6], s[2:3]
	v_mul_f64 v[7:8], v[7:8], s[2:3]
	v_cvt_f32_f64_e32 v5, v[5:6]
	v_cvt_f32_f64_e32 v6, v[7:8]
	global_store_dwordx2 v[0:1], v[5:6], off
	global_load_dwordx2 v[9:10], v[11:12], off offset:2648
	ds_read2_b64 v[5:8], v132 offset0:75 offset1:174
	v_add_co_u32_e32 v0, vcc, s4, v0
	v_addc_co_u32_e32 v1, vcc, v1, v13, vcc
	s_waitcnt vmcnt(0) lgkmcnt(0)
	v_mul_f32_e32 v14, v6, v10
	v_mul_f32_e32 v10, v5, v10
	v_fmac_f32_e32 v14, v5, v9
	v_fma_f32 v9, v9, v6, -v10
	v_cvt_f64_f32_e32 v[5:6], v14
	v_cvt_f64_f32_e32 v[9:10], v9
	v_mul_f64 v[5:6], v[5:6], s[2:3]
	v_mul_f64 v[9:10], v[9:10], s[2:3]
	v_cvt_f32_f64_e32 v5, v[5:6]
	v_cvt_f32_f64_e32 v6, v[9:10]
	global_store_dwordx2 v[0:1], v[5:6], off
	global_load_dwordx2 v[5:6], v[11:12], off offset:3440
	s_waitcnt vmcnt(0)
	v_mul_f32_e32 v9, v8, v6
	v_mul_f32_e32 v6, v7, v6
	v_fmac_f32_e32 v9, v7, v5
	v_fma_f32 v7, v5, v8, -v6
	v_cvt_f64_f32_e32 v[5:6], v9
	v_cvt_f64_f32_e32 v[7:8], v7
	v_add_co_u32_e32 v9, vcc, s10, v196
	v_mul_f64 v[5:6], v[5:6], s[2:3]
	v_mul_f64 v[7:8], v[7:8], s[2:3]
	v_addc_co_u32_e32 v10, vcc, 0, v197, vcc
	v_add_co_u32_e32 v0, vcc, s4, v0
	v_addc_co_u32_e32 v1, vcc, v1, v13, vcc
	v_cvt_f32_f64_e32 v5, v[5:6]
	v_cvt_f32_f64_e32 v6, v[7:8]
	global_store_dwordx2 v[0:1], v[5:6], off
	global_load_dwordx2 v[11:12], v[9:10], off offset:136
	ds_read2_b64 v[5:8], v131 offset0:17 offset1:116
	v_add_co_u32_e32 v0, vcc, s4, v0
	v_addc_co_u32_e32 v1, vcc, v1, v13, vcc
	s_waitcnt vmcnt(0) lgkmcnt(0)
	v_mul_f32_e32 v14, v6, v12
	v_mul_f32_e32 v12, v5, v12
	v_fmac_f32_e32 v14, v5, v11
	v_fma_f32 v11, v11, v6, -v12
	v_cvt_f64_f32_e32 v[5:6], v14
	v_cvt_f64_f32_e32 v[11:12], v11
	v_mul_f64 v[5:6], v[5:6], s[2:3]
	v_mul_f64 v[11:12], v[11:12], s[2:3]
	v_cvt_f32_f64_e32 v5, v[5:6]
	v_cvt_f32_f64_e32 v6, v[11:12]
	global_store_dwordx2 v[0:1], v[5:6], off
	global_load_dwordx2 v[5:6], v[9:10], off offset:928
	v_add_co_u32_e32 v0, vcc, s4, v0
	v_addc_co_u32_e32 v1, vcc, v1, v13, vcc
	s_waitcnt vmcnt(0)
	v_mul_f32_e32 v11, v8, v6
	v_mul_f32_e32 v6, v7, v6
	v_fmac_f32_e32 v11, v7, v5
	v_fma_f32 v7, v5, v8, -v6
	v_cvt_f64_f32_e32 v[5:6], v11
	v_cvt_f64_f32_e32 v[7:8], v7
	v_mul_f64 v[5:6], v[5:6], s[2:3]
	v_mul_f64 v[7:8], v[7:8], s[2:3]
	v_cvt_f32_f64_e32 v5, v[5:6]
	v_cvt_f32_f64_e32 v6, v[7:8]
	global_store_dwordx2 v[0:1], v[5:6], off
	global_load_dwordx2 v[11:12], v[9:10], off offset:1720
	ds_read2_b64 v[4:7], v4 offset0:87 offset1:186
	v_add_co_u32_e32 v0, vcc, s4, v0
	v_addc_co_u32_e32 v1, vcc, v1, v13, vcc
	s_waitcnt vmcnt(0) lgkmcnt(0)
	v_mul_f32_e32 v8, v5, v12
	v_mul_f32_e32 v12, v4, v12
	v_fmac_f32_e32 v8, v4, v11
	v_fma_f32 v11, v11, v5, -v12
	v_cvt_f64_f32_e32 v[4:5], v8
	v_cvt_f64_f32_e32 v[11:12], v11
	v_mul_f64 v[4:5], v[4:5], s[2:3]
	v_mul_f64 v[11:12], v[11:12], s[2:3]
	v_cvt_f32_f64_e32 v4, v[4:5]
	v_cvt_f32_f64_e32 v5, v[11:12]
	global_store_dwordx2 v[0:1], v[4:5], off
	global_load_dwordx2 v[4:5], v[9:10], off offset:2512
	v_add_co_u32_e32 v0, vcc, s4, v0
	v_addc_co_u32_e32 v1, vcc, v1, v13, vcc
	s_waitcnt vmcnt(0)
	v_mul_f32_e32 v8, v7, v5
	v_mul_f32_e32 v5, v6, v5
	v_fmac_f32_e32 v8, v6, v4
	v_fma_f32 v6, v4, v7, -v5
	v_cvt_f64_f32_e32 v[4:5], v8
	v_cvt_f64_f32_e32 v[6:7], v6
	v_mul_f64 v[4:5], v[4:5], s[2:3]
	v_mul_f64 v[6:7], v[6:7], s[2:3]
	v_cvt_f32_f64_e32 v4, v[4:5]
	v_cvt_f32_f64_e32 v5, v[6:7]
	global_store_dwordx2 v[0:1], v[4:5], off
	global_load_dwordx2 v[8:9], v[9:10], off offset:3304
	ds_read2_b64 v[4:7], v130 offset0:29 offset1:128
	v_add_co_u32_e32 v0, vcc, s4, v0
	v_addc_co_u32_e32 v1, vcc, v1, v13, vcc
	s_movk_i32 s4, 0x3000
	s_waitcnt vmcnt(0) lgkmcnt(0)
	v_mul_f32_e32 v10, v5, v9
	v_mul_f32_e32 v9, v4, v9
	v_fmac_f32_e32 v10, v4, v8
	v_fma_f32 v8, v8, v5, -v9
	v_cvt_f64_f32_e32 v[4:5], v10
	v_cvt_f64_f32_e32 v[8:9], v8
	v_or_b32_e32 v10, 0x600, v215
	v_lshlrev_b32_e32 v11, 3, v10
	v_mul_f64 v[4:5], v[4:5], s[2:3]
	v_mul_f64 v[8:9], v[8:9], s[2:3]
	v_cvt_f32_f64_e32 v4, v[4:5]
	v_cvt_f32_f64_e32 v5, v[8:9]
	v_mad_u64_u32 v[8:9], s[0:1], s8, v10, 0
	global_store_dwordx2 v[0:1], v[4:5], off
	global_load_dwordx2 v[4:5], v11, s[6:7]
	v_mad_u64_u32 v[9:10], s[0:1], s9, v10, v[9:10]
	v_add_co_u32_e32 v10, vcc, s4, v196
	v_lshlrev_b64 v[8:9], 3, v[8:9]
	s_waitcnt vmcnt(0)
	v_mul_f32_e32 v11, v7, v5
	v_mul_f32_e32 v5, v6, v5
	v_fmac_f32_e32 v11, v6, v4
	v_fma_f32 v6, v4, v7, -v5
	v_cvt_f64_f32_e32 v[4:5], v11
	v_cvt_f64_f32_e32 v[6:7], v6
	v_addc_co_u32_e32 v11, vcc, 0, v197, vcc
	v_mul_f64 v[4:5], v[4:5], s[2:3]
	v_mul_f64 v[6:7], v[6:7], s[2:3]
	v_add_co_u32_e32 v2, vcc, v2, v8
	v_addc_co_u32_e32 v3, vcc, v3, v9, vcc
	v_cvt_f32_f64_e32 v4, v[4:5]
	v_cvt_f32_f64_e32 v5, v[6:7]
	global_store_dwordx2 v[2:3], v[4:5], off
	global_load_dwordx2 v[2:3], v[10:11], off offset:792
	ds_read_b64 v[4:5], v237 offset:13080
	s_waitcnt vmcnt(0) lgkmcnt(0)
	v_mul_f32_e32 v6, v5, v3
	v_mul_f32_e32 v3, v4, v3
	v_fmac_f32_e32 v6, v4, v2
	v_fma_f32 v4, v2, v5, -v3
	v_cvt_f64_f32_e32 v[2:3], v6
	v_cvt_f64_f32_e32 v[4:5], v4
	v_mov_b32_e32 v6, 0x630
	v_mad_u64_u32 v[0:1], s[0:1], s8, v6, v[0:1]
	v_mul_f64 v[2:3], v[2:3], s[2:3]
	v_mul_f64 v[4:5], v[4:5], s[2:3]
	s_mul_i32 s0, s9, 0x630
	v_add_u32_e32 v1, s0, v1
	v_cvt_f32_f64_e32 v2, v[2:3]
	v_cvt_f32_f64_e32 v3, v[4:5]
	global_store_dwordx2 v[0:1], v[2:3], off
.LBB0_15:
	s_endpgm
	.section	.rodata,"a",@progbits
	.p2align	6, 0x0
	.amdhsa_kernel bluestein_single_fwd_len1683_dim1_sp_op_CI_CI
		.amdhsa_group_segment_fixed_size 13464
		.amdhsa_private_segment_fixed_size 380
		.amdhsa_kernarg_size 104
		.amdhsa_user_sgpr_count 6
		.amdhsa_user_sgpr_private_segment_buffer 1
		.amdhsa_user_sgpr_dispatch_ptr 0
		.amdhsa_user_sgpr_queue_ptr 0
		.amdhsa_user_sgpr_kernarg_segment_ptr 1
		.amdhsa_user_sgpr_dispatch_id 0
		.amdhsa_user_sgpr_flat_scratch_init 0
		.amdhsa_user_sgpr_private_segment_size 0
		.amdhsa_uses_dynamic_stack 0
		.amdhsa_system_sgpr_private_segment_wavefront_offset 1
		.amdhsa_system_sgpr_workgroup_id_x 1
		.amdhsa_system_sgpr_workgroup_id_y 0
		.amdhsa_system_sgpr_workgroup_id_z 0
		.amdhsa_system_sgpr_workgroup_info 0
		.amdhsa_system_vgpr_workitem_id 0
		.amdhsa_next_free_vgpr 256
		.amdhsa_next_free_sgpr 28
		.amdhsa_reserve_vcc 1
		.amdhsa_reserve_flat_scratch 0
		.amdhsa_float_round_mode_32 0
		.amdhsa_float_round_mode_16_64 0
		.amdhsa_float_denorm_mode_32 3
		.amdhsa_float_denorm_mode_16_64 3
		.amdhsa_dx10_clamp 1
		.amdhsa_ieee_mode 1
		.amdhsa_fp16_overflow 0
		.amdhsa_exception_fp_ieee_invalid_op 0
		.amdhsa_exception_fp_denorm_src 0
		.amdhsa_exception_fp_ieee_div_zero 0
		.amdhsa_exception_fp_ieee_overflow 0
		.amdhsa_exception_fp_ieee_underflow 0
		.amdhsa_exception_fp_ieee_inexact 0
		.amdhsa_exception_int_div_zero 0
	.end_amdhsa_kernel
	.text
.Lfunc_end0:
	.size	bluestein_single_fwd_len1683_dim1_sp_op_CI_CI, .Lfunc_end0-bluestein_single_fwd_len1683_dim1_sp_op_CI_CI
                                        ; -- End function
	.section	.AMDGPU.csdata,"",@progbits
; Kernel info:
; codeLenInByte = 50308
; NumSgprs: 32
; NumVgprs: 256
; ScratchSize: 380
; MemoryBound: 0
; FloatMode: 240
; IeeeMode: 1
; LDSByteSize: 13464 bytes/workgroup (compile time only)
; SGPRBlocks: 3
; VGPRBlocks: 63
; NumSGPRsForWavesPerEU: 32
; NumVGPRsForWavesPerEU: 256
; Occupancy: 1
; WaveLimiterHint : 1
; COMPUTE_PGM_RSRC2:SCRATCH_EN: 1
; COMPUTE_PGM_RSRC2:USER_SGPR: 6
; COMPUTE_PGM_RSRC2:TRAP_HANDLER: 0
; COMPUTE_PGM_RSRC2:TGID_X_EN: 1
; COMPUTE_PGM_RSRC2:TGID_Y_EN: 0
; COMPUTE_PGM_RSRC2:TGID_Z_EN: 0
; COMPUTE_PGM_RSRC2:TIDIG_COMP_CNT: 0
	.type	__hip_cuid_a867b7a291926359,@object ; @__hip_cuid_a867b7a291926359
	.section	.bss,"aw",@nobits
	.globl	__hip_cuid_a867b7a291926359
__hip_cuid_a867b7a291926359:
	.byte	0                               ; 0x0
	.size	__hip_cuid_a867b7a291926359, 1

	.ident	"AMD clang version 19.0.0git (https://github.com/RadeonOpenCompute/llvm-project roc-6.4.0 25133 c7fe45cf4b819c5991fe208aaa96edf142730f1d)"
	.section	".note.GNU-stack","",@progbits
	.addrsig
	.addrsig_sym __hip_cuid_a867b7a291926359
	.amdgpu_metadata
---
amdhsa.kernels:
  - .args:
      - .actual_access:  read_only
        .address_space:  global
        .offset:         0
        .size:           8
        .value_kind:     global_buffer
      - .actual_access:  read_only
        .address_space:  global
        .offset:         8
        .size:           8
        .value_kind:     global_buffer
      - .actual_access:  read_only
        .address_space:  global
        .offset:         16
        .size:           8
        .value_kind:     global_buffer
      - .actual_access:  read_only
        .address_space:  global
        .offset:         24
        .size:           8
        .value_kind:     global_buffer
      - .actual_access:  read_only
        .address_space:  global
        .offset:         32
        .size:           8
        .value_kind:     global_buffer
      - .offset:         40
        .size:           8
        .value_kind:     by_value
      - .address_space:  global
        .offset:         48
        .size:           8
        .value_kind:     global_buffer
      - .address_space:  global
        .offset:         56
        .size:           8
        .value_kind:     global_buffer
      - .address_space:  global
        .offset:         64
        .size:           8
        .value_kind:     global_buffer
      - .address_space:  global
        .offset:         72
        .size:           8
        .value_kind:     global_buffer
      - .offset:         80
        .size:           4
        .value_kind:     by_value
      - .address_space:  global
        .offset:         88
        .size:           8
        .value_kind:     global_buffer
      - .address_space:  global
        .offset:         96
        .size:           8
        .value_kind:     global_buffer
    .group_segment_fixed_size: 13464
    .kernarg_segment_align: 8
    .kernarg_segment_size: 104
    .language:       OpenCL C
    .language_version:
      - 2
      - 0
    .max_flat_workgroup_size: 51
    .name:           bluestein_single_fwd_len1683_dim1_sp_op_CI_CI
    .private_segment_fixed_size: 380
    .sgpr_count:     32
    .sgpr_spill_count: 0
    .symbol:         bluestein_single_fwd_len1683_dim1_sp_op_CI_CI.kd
    .uniform_work_group_size: 1
    .uses_dynamic_stack: false
    .vgpr_count:     256
    .vgpr_spill_count: 94
    .wavefront_size: 64
amdhsa.target:   amdgcn-amd-amdhsa--gfx906
amdhsa.version:
  - 1
  - 2
...

	.end_amdgpu_metadata
